;; amdgpu-corpus repo=ROCm/rocFFT kind=compiled arch=gfx950 opt=O3
	.text
	.amdgcn_target "amdgcn-amd-amdhsa--gfx950"
	.amdhsa_code_object_version 6
	.protected	fft_rtc_back_len578_factors_17_17_2_wgs_238_tpt_34_halfLds_dp_ip_CI_sbrr_dirReg ; -- Begin function fft_rtc_back_len578_factors_17_17_2_wgs_238_tpt_34_halfLds_dp_ip_CI_sbrr_dirReg
	.globl	fft_rtc_back_len578_factors_17_17_2_wgs_238_tpt_34_halfLds_dp_ip_CI_sbrr_dirReg
	.p2align	8
	.type	fft_rtc_back_len578_factors_17_17_2_wgs_238_tpt_34_halfLds_dp_ip_CI_sbrr_dirReg,@function
fft_rtc_back_len578_factors_17_17_2_wgs_238_tpt_34_halfLds_dp_ip_CI_sbrr_dirReg: ; @fft_rtc_back_len578_factors_17_17_2_wgs_238_tpt_34_halfLds_dp_ip_CI_sbrr_dirReg
; %bb.0:
	s_load_dwordx2 s[12:13], s[0:1], 0x18
	s_load_dwordx4 s[4:7], s[0:1], 0x0
	s_load_dwordx2 s[10:11], s[0:1], 0x50
	v_mul_u32_u24_e32 v1, 0x788, v0
	v_lshrrev_b32_e32 v2, 16, v1
	s_waitcnt lgkmcnt(0)
	s_load_dwordx2 s[8:9], s[12:13], 0x0
	v_mad_u64_u32 v[86:87], s[2:3], s2, 7, v[2:3]
	v_mov_b32_e32 v4, 0
	v_mov_b32_e32 v87, v4
	v_cmp_lt_u64_e64 s[2:3], s[6:7], 2
	s_and_b64 vcc, exec, s[2:3]
	v_mov_b64_e32 v[2:3], 0
	v_mov_b64_e32 v[8:9], v[86:87]
	s_cbranch_vccnz .LBB0_8
; %bb.1:
	s_load_dwordx2 s[2:3], s[0:1], 0x10
	s_add_u32 s14, s12, 8
	s_addc_u32 s15, s13, 0
	s_mov_b64 s[16:17], 1
	v_mov_b64_e32 v[2:3], 0
	s_waitcnt lgkmcnt(0)
	s_add_u32 s18, s2, 8
	s_addc_u32 s19, s3, 0
	v_mov_b64_e32 v[6:7], v[86:87]
.LBB0_2:                                ; =>This Inner Loop Header: Depth=1
	s_load_dwordx2 s[20:21], s[18:19], 0x0
                                        ; implicit-def: $vgpr8_vgpr9
	s_waitcnt lgkmcnt(0)
	v_or_b32_e32 v5, s21, v7
	v_cmp_ne_u64_e32 vcc, 0, v[4:5]
	s_and_saveexec_b64 s[2:3], vcc
	s_xor_b64 s[22:23], exec, s[2:3]
	s_cbranch_execz .LBB0_4
; %bb.3:                                ;   in Loop: Header=BB0_2 Depth=1
	v_cvt_f32_u32_e32 v1, s20
	v_cvt_f32_u32_e32 v5, s21
	s_sub_u32 s2, 0, s20
	s_subb_u32 s3, 0, s21
	v_fmac_f32_e32 v1, 0x4f800000, v5
	v_rcp_f32_e32 v1, v1
	s_nop 0
	v_mul_f32_e32 v1, 0x5f7ffffc, v1
	v_mul_f32_e32 v5, 0x2f800000, v1
	v_trunc_f32_e32 v5, v5
	v_fmac_f32_e32 v1, 0xcf800000, v5
	v_cvt_u32_f32_e32 v5, v5
	v_cvt_u32_f32_e32 v1, v1
	v_mul_lo_u32 v8, s2, v5
	v_mul_hi_u32 v10, s2, v1
	v_mul_lo_u32 v9, s3, v1
	v_add_u32_e32 v10, v10, v8
	v_mul_lo_u32 v12, s2, v1
	v_add_u32_e32 v13, v10, v9
	v_mul_hi_u32 v8, v1, v12
	v_mul_hi_u32 v11, v1, v13
	v_mul_lo_u32 v10, v1, v13
	v_mov_b32_e32 v9, v4
	v_lshl_add_u64 v[8:9], v[8:9], 0, v[10:11]
	v_mul_hi_u32 v11, v5, v12
	v_mul_lo_u32 v12, v5, v12
	v_add_co_u32_e32 v8, vcc, v8, v12
	v_mul_hi_u32 v10, v5, v13
	s_nop 0
	v_addc_co_u32_e32 v8, vcc, v9, v11, vcc
	v_mov_b32_e32 v9, v4
	s_nop 0
	v_addc_co_u32_e32 v11, vcc, 0, v10, vcc
	v_mul_lo_u32 v10, v5, v13
	v_lshl_add_u64 v[8:9], v[8:9], 0, v[10:11]
	v_add_co_u32_e32 v1, vcc, v1, v8
	v_mul_lo_u32 v10, s2, v1
	s_nop 0
	v_addc_co_u32_e32 v5, vcc, v5, v9, vcc
	v_mul_lo_u32 v8, s2, v5
	v_mul_hi_u32 v9, s2, v1
	v_add_u32_e32 v8, v9, v8
	v_mul_lo_u32 v9, s3, v1
	v_add_u32_e32 v12, v8, v9
	v_mul_hi_u32 v14, v5, v10
	v_mul_lo_u32 v15, v5, v10
	v_mul_hi_u32 v9, v1, v12
	v_mul_lo_u32 v8, v1, v12
	v_mul_hi_u32 v10, v1, v10
	v_mov_b32_e32 v11, v4
	v_lshl_add_u64 v[8:9], v[10:11], 0, v[8:9]
	v_add_co_u32_e32 v8, vcc, v8, v15
	v_mul_hi_u32 v13, v5, v12
	s_nop 0
	v_addc_co_u32_e32 v8, vcc, v9, v14, vcc
	v_mul_lo_u32 v10, v5, v12
	s_nop 0
	v_addc_co_u32_e32 v11, vcc, 0, v13, vcc
	v_mov_b32_e32 v9, v4
	v_lshl_add_u64 v[8:9], v[8:9], 0, v[10:11]
	v_add_co_u32_e32 v1, vcc, v1, v8
	v_mul_hi_u32 v10, v6, v1
	s_nop 0
	v_addc_co_u32_e32 v5, vcc, v5, v9, vcc
	v_mad_u64_u32 v[8:9], s[2:3], v6, v5, 0
	v_mov_b32_e32 v11, v4
	v_lshl_add_u64 v[8:9], v[10:11], 0, v[8:9]
	v_mad_u64_u32 v[12:13], s[2:3], v7, v1, 0
	v_add_co_u32_e32 v1, vcc, v8, v12
	v_mad_u64_u32 v[10:11], s[2:3], v7, v5, 0
	s_nop 0
	v_addc_co_u32_e32 v8, vcc, v9, v13, vcc
	v_mov_b32_e32 v9, v4
	s_nop 0
	v_addc_co_u32_e32 v11, vcc, 0, v11, vcc
	v_lshl_add_u64 v[8:9], v[8:9], 0, v[10:11]
	v_mul_lo_u32 v1, s21, v8
	v_mul_lo_u32 v5, s20, v9
	v_mad_u64_u32 v[10:11], s[2:3], s20, v8, 0
	v_add3_u32 v1, v11, v5, v1
	v_sub_u32_e32 v5, v7, v1
	v_mov_b32_e32 v11, s21
	v_sub_co_u32_e32 v14, vcc, v6, v10
	v_lshl_add_u64 v[12:13], v[8:9], 0, 1
	s_nop 0
	v_subb_co_u32_e64 v5, s[2:3], v5, v11, vcc
	v_subrev_co_u32_e64 v10, s[2:3], s20, v14
	v_subb_co_u32_e32 v1, vcc, v7, v1, vcc
	s_nop 0
	v_subbrev_co_u32_e64 v5, s[2:3], 0, v5, s[2:3]
	v_cmp_le_u32_e64 s[2:3], s21, v5
	v_cmp_le_u32_e32 vcc, s21, v1
	s_nop 0
	v_cndmask_b32_e64 v11, 0, -1, s[2:3]
	v_cmp_le_u32_e64 s[2:3], s20, v10
	s_nop 1
	v_cndmask_b32_e64 v10, 0, -1, s[2:3]
	v_cmp_eq_u32_e64 s[2:3], s21, v5
	s_nop 1
	v_cndmask_b32_e64 v5, v11, v10, s[2:3]
	v_lshl_add_u64 v[10:11], v[8:9], 0, 2
	v_cmp_ne_u32_e64 s[2:3], 0, v5
	s_nop 1
	v_cndmask_b32_e64 v5, v13, v11, s[2:3]
	v_cndmask_b32_e64 v11, 0, -1, vcc
	v_cmp_le_u32_e32 vcc, s20, v14
	s_nop 1
	v_cndmask_b32_e64 v13, 0, -1, vcc
	v_cmp_eq_u32_e32 vcc, s21, v1
	s_nop 1
	v_cndmask_b32_e32 v1, v11, v13, vcc
	v_cmp_ne_u32_e32 vcc, 0, v1
	v_cndmask_b32_e64 v1, v12, v10, s[2:3]
	s_nop 0
	v_cndmask_b32_e32 v9, v9, v5, vcc
	v_cndmask_b32_e32 v8, v8, v1, vcc
.LBB0_4:                                ;   in Loop: Header=BB0_2 Depth=1
	s_andn2_saveexec_b64 s[2:3], s[22:23]
	s_cbranch_execz .LBB0_6
; %bb.5:                                ;   in Loop: Header=BB0_2 Depth=1
	v_cvt_f32_u32_e32 v1, s20
	s_sub_i32 s22, 0, s20
	v_rcp_iflag_f32_e32 v1, v1
	s_nop 0
	v_mul_f32_e32 v1, 0x4f7ffffe, v1
	v_cvt_u32_f32_e32 v1, v1
	v_mul_lo_u32 v5, s22, v1
	v_mul_hi_u32 v5, v1, v5
	v_add_u32_e32 v1, v1, v5
	v_mul_hi_u32 v1, v6, v1
	v_mul_lo_u32 v5, v1, s20
	v_sub_u32_e32 v5, v6, v5
	v_add_u32_e32 v8, 1, v1
	v_subrev_u32_e32 v9, s20, v5
	v_cmp_le_u32_e32 vcc, s20, v5
	s_nop 1
	v_cndmask_b32_e32 v5, v5, v9, vcc
	v_cndmask_b32_e32 v1, v1, v8, vcc
	v_add_u32_e32 v8, 1, v1
	v_cmp_le_u32_e32 vcc, s20, v5
	v_mov_b32_e32 v9, v4
	s_nop 0
	v_cndmask_b32_e32 v8, v1, v8, vcc
.LBB0_6:                                ;   in Loop: Header=BB0_2 Depth=1
	s_or_b64 exec, exec, s[2:3]
	v_mad_u64_u32 v[10:11], s[2:3], v8, s20, 0
	s_load_dwordx2 s[2:3], s[14:15], 0x0
	v_mul_lo_u32 v1, v9, s20
	v_mul_lo_u32 v5, v8, s21
	v_add3_u32 v1, v11, v5, v1
	v_sub_co_u32_e32 v5, vcc, v6, v10
	s_add_u32 s16, s16, 1
	s_nop 0
	v_subb_co_u32_e32 v1, vcc, v7, v1, vcc
	s_addc_u32 s17, s17, 0
	s_waitcnt lgkmcnt(0)
	v_mul_lo_u32 v1, s2, v1
	v_mul_lo_u32 v6, s3, v5
	v_mad_u64_u32 v[2:3], s[2:3], s2, v5, v[2:3]
	s_add_u32 s14, s14, 8
	v_add3_u32 v3, v6, v3, v1
	s_addc_u32 s15, s15, 0
	v_mov_b64_e32 v[6:7], s[6:7]
	s_add_u32 s18, s18, 8
	v_cmp_ge_u64_e32 vcc, s[16:17], v[6:7]
	s_addc_u32 s19, s19, 0
	s_cbranch_vccnz .LBB0_8
; %bb.7:                                ;   in Loop: Header=BB0_2 Depth=1
	v_mov_b64_e32 v[6:7], v[8:9]
	s_branch .LBB0_2
.LBB0_8:
	s_lshl_b64 s[2:3], s[6:7], 3
	s_add_u32 s2, s12, s2
	s_addc_u32 s3, s13, s3
	s_load_dwordx2 s[6:7], s[2:3], 0x0
	s_load_dwordx2 s[12:13], s[0:1], 0x20
	s_mov_b32 s2, 0x7878788
                                        ; implicit-def: $vgpr84
                                        ; implicit-def: $vgpr74
                                        ; implicit-def: $vgpr76
                                        ; implicit-def: $vgpr78
                                        ; implicit-def: $vgpr80
                                        ; implicit-def: $vgpr82
                                        ; implicit-def: $vgpr72
                                        ; implicit-def: $vgpr69
	s_waitcnt lgkmcnt(0)
	v_mul_lo_u32 v1, s6, v9
	v_mul_lo_u32 v4, s7, v8
	v_mad_u64_u32 v[2:3], s[0:1], s6, v8, v[2:3]
	v_add3_u32 v3, v4, v3, v1
	v_mul_hi_u32 v1, v0, s2
	v_mul_u32_u24_e32 v1, 34, v1
	v_sub_u32_e32 v68, v0, v1
	v_cmp_gt_u64_e32 vcc, s[12:13], v[8:9]
	v_cmp_le_u64_e64 s[0:1], s[12:13], v[8:9]
	v_add_u32_e32 v124, 34, v68
	s_and_saveexec_b64 s[2:3], s[0:1]
	s_xor_b64 s[0:1], exec, s[2:3]
; %bb.9:
	v_add_u32_e32 v84, 34, v68
	v_add_u32_e32 v74, 0x44, v68
	;; [unrolled: 1-line block ×8, first 2 shown]
; %bb.10:
	s_or_saveexec_b64 s[0:1], s[0:1]
	v_lshl_add_u64 v[70:71], v[2:3], 4, s[10:11]
                                        ; implicit-def: $vgpr66_vgpr67
                                        ; implicit-def: $vgpr62_vgpr63
                                        ; implicit-def: $vgpr50_vgpr51
                                        ; implicit-def: $vgpr38_vgpr39
                                        ; implicit-def: $vgpr30_vgpr31
                                        ; implicit-def: $vgpr22_vgpr23
                                        ; implicit-def: $vgpr14_vgpr15
                                        ; implicit-def: $vgpr6_vgpr7
                                        ; implicit-def: $vgpr2_vgpr3
                                        ; implicit-def: $vgpr10_vgpr11
                                        ; implicit-def: $vgpr18_vgpr19
                                        ; implicit-def: $vgpr26_vgpr27
                                        ; implicit-def: $vgpr34_vgpr35
                                        ; implicit-def: $vgpr46_vgpr47
                                        ; implicit-def: $vgpr58_vgpr59
                                        ; implicit-def: $vgpr54_vgpr55
                                        ; implicit-def: $vgpr42_vgpr43
	s_xor_b64 exec, exec, s[0:1]
	s_cbranch_execz .LBB0_12
; %bb.11:
	v_mad_u64_u32 v[0:1], s[2:3], s8, v68, 0
	v_mov_b32_e32 v2, v1
	v_mad_u64_u32 v[2:3], s[2:3], s9, v68, v[2:3]
	v_mov_b32_e32 v1, v2
	;; [unrolled: 2-line block ×3, first 2 shown]
	v_mad_u64_u32 v[4:5], s[2:3], s9, v124, v[4:5]
	v_lshl_add_u64 v[0:1], v[0:1], 4, v[70:71]
	v_mov_b32_e32 v3, v4
	v_add_u32_e32 v74, 0x44, v68
	v_lshl_add_u64 v[2:3], v[2:3], 4, v[70:71]
	global_load_dwordx4 v[40:43], v[0:1], off
	global_load_dwordx4 v[52:55], v[2:3], off
	v_mad_u64_u32 v[0:1], s[2:3], s8, v74, 0
	v_mov_b32_e32 v2, v1
	v_mad_u64_u32 v[2:3], s[2:3], s9, v74, v[2:3]
	v_add_u32_e32 v76, 0x66, v68
	v_mov_b32_e32 v1, v2
	v_mad_u64_u32 v[2:3], s[2:3], s8, v76, 0
	v_mov_b32_e32 v4, v3
	v_mad_u64_u32 v[4:5], s[2:3], s9, v76, v[4:5]
	v_add_u32_e32 v78, 0x88, v68
	v_mov_b32_e32 v3, v4
	;; [unrolled: 5-line block ×14, first 2 shown]
	v_mad_u64_u32 v[28:29], s[2:3], s8, v31, 0
	v_mov_b32_e32 v30, v29
	v_mad_u64_u32 v[30:31], s[2:3], s9, v31, v[30:31]
	v_lshl_add_u64 v[0:1], v[0:1], 4, v[70:71]
	v_lshl_add_u64 v[2:3], v[2:3], 4, v[70:71]
	v_mov_b32_e32 v29, v30
	v_lshl_add_u64 v[84:85], v[4:5], 4, v[70:71]
	global_load_dwordx4 v[56:59], v[0:1], off
	global_load_dwordx4 v[44:47], v[2:3], off
	v_lshl_add_u64 v[88:89], v[6:7], 4, v[70:71]
	v_lshl_add_u64 v[90:91], v[8:9], 4, v[70:71]
	;; [unrolled: 1-line block ×12, first 2 shown]
	global_load_dwordx4 v[32:35], v[84:85], off
	global_load_dwordx4 v[24:27], v[88:89], off
	;; [unrolled: 1-line block ×13, first 2 shown]
	v_mov_b32_e32 v84, v124
.LBB0_12:
	s_or_b64 exec, exec, s[0:1]
	s_mov_b32 s0, 0x24924925
	v_mul_hi_u32 v73, v86, s0
	v_sub_u32_e32 v75, v86, v73
	v_lshrrev_b32_e32 v75, 1, v75
	v_add_u32_e32 v73, v75, v73
	v_lshrrev_b32_e32 v73, 2, v73
	v_mul_lo_u32 v73, v73, 7
	v_sub_u32_e32 v73, v86, v73
	s_waitcnt vmcnt(15)
	v_add_f64 v[86:87], v[52:53], v[40:41]
	v_add_f64 v[88:89], v[54:55], v[42:43]
	s_waitcnt vmcnt(14)
	v_add_f64 v[86:87], v[56:57], v[86:87]
	v_add_f64 v[88:89], v[58:59], v[88:89]
	;; [unrolled: 3-line block ×14, first 2 shown]
	s_mov_b32 s6, 0x5d8e7cdc
	s_mov_b32 s12, 0x2a9d6da3
	;; [unrolled: 1-line block ×8, first 2 shown]
	s_waitcnt vmcnt(1)
	v_add_f64 v[86:87], v[60:61], v[86:87]
	v_add_f64 v[90:91], v[62:63], v[88:89]
	s_waitcnt vmcnt(0)
	v_add_f64 v[92:93], v[66:67], v[54:55]
	v_add_f64 v[54:55], v[54:55], -v[66:67]
	s_mov_b32 s7, 0xbfd71e95
	s_mov_b32 s10, 0x370991
	;; [unrolled: 1-line block ×16, first 2 shown]
	v_add_f64 v[88:89], v[64:65], v[86:87]
	v_add_f64 v[86:87], v[66:67], v[90:91]
	;; [unrolled: 1-line block ×3, first 2 shown]
	v_add_f64 v[52:53], v[52:53], -v[64:65]
	v_mul_f64 v[64:65], v[54:55], s[6:7]
	s_mov_b32 s11, 0x3fedd6d0
	v_mul_f64 v[98:99], v[54:55], s[12:13]
	s_mov_b32 s15, 0x3fe7a5f6
	;; [unrolled: 2-line block ×8, first 2 shown]
	v_fma_f64 v[66:67], s[10:11], v[90:91], v[64:65]
	v_mul_f64 v[94:95], v[52:53], s[6:7]
	v_fma_f64 v[64:65], v[90:91], s[10:11], -v[64:65]
	v_fma_f64 v[100:101], s[14:15], v[90:91], v[98:99]
	v_mul_f64 v[102:103], v[52:53], s[12:13]
	v_fma_f64 v[98:99], v[90:91], s[14:15], -v[98:99]
	;; [unrolled: 3-line block ×8, first 2 shown]
	v_add_f64 v[66:67], v[40:41], v[66:67]
	v_fma_f64 v[96:97], v[92:93], s[10:11], -v[94:95]
	v_add_f64 v[64:65], v[40:41], v[64:65]
	v_fmac_f64_e32 v[94:95], s[10:11], v[92:93]
	v_add_f64 v[100:101], v[40:41], v[100:101]
	v_fma_f64 v[104:105], v[92:93], s[14:15], -v[102:103]
	v_add_f64 v[98:99], v[40:41], v[98:99]
	v_fmac_f64_e32 v[102:103], s[14:15], v[92:93]
	;; [unrolled: 4-line block ×8, first 2 shown]
	v_add_f64 v[54:55], v[62:63], v[58:59]
	v_add_f64 v[58:59], v[58:59], -v[62:63]
	v_add_f64 v[96:97], v[42:43], v[96:97]
	v_add_f64 v[94:95], v[42:43], v[94:95]
	;; [unrolled: 1-line block ×17, first 2 shown]
	v_add_f64 v[56:57], v[56:57], -v[60:61]
	v_mul_f64 v[60:61], v[58:59], s[12:13]
	v_fma_f64 v[62:63], s[14:15], v[52:53], v[60:61]
	v_add_f64 v[62:63], v[62:63], v[66:67]
	v_mul_f64 v[66:67], v[56:57], s[12:13]
	v_fma_f64 v[90:91], v[54:55], s[14:15], -v[66:67]
	v_fma_f64 v[60:61], v[52:53], s[14:15], -v[60:61]
	v_fmac_f64_e32 v[66:67], s[14:15], v[54:55]
	v_add_f64 v[60:61], v[60:61], v[64:65]
	v_add_f64 v[64:65], v[66:67], v[94:95]
	v_mul_f64 v[66:67], v[58:59], s[20:21]
	v_fma_f64 v[92:93], s[22:23], v[52:53], v[66:67]
	v_mul_f64 v[94:95], v[56:57], s[20:21]
	v_fma_f64 v[66:67], v[52:53], s[22:23], -v[66:67]
	v_add_f64 v[90:91], v[90:91], v[96:97]
	v_fma_f64 v[96:97], v[54:55], s[22:23], -v[94:95]
	v_add_f64 v[66:67], v[66:67], v[98:99]
	v_fmac_f64_e32 v[94:95], s[22:23], v[54:55]
	v_mul_f64 v[98:99], v[58:59], s[28:29]
	v_add_f64 v[92:93], v[92:93], v[100:101]
	v_add_f64 v[94:95], v[94:95], v[102:103]
	v_fma_f64 v[100:101], s[30:31], v[52:53], v[98:99]
	v_mul_f64 v[102:103], v[56:57], s[28:29]
	v_fma_f64 v[98:99], v[52:53], s[30:31], -v[98:99]
	v_add_f64 v[96:97], v[96:97], v[104:105]
	v_fma_f64 v[104:105], v[54:55], s[30:31], -v[102:103]
	v_add_f64 v[98:99], v[98:99], v[106:107]
	v_fmac_f64_e32 v[102:103], s[30:31], v[54:55]
	v_mul_f64 v[106:107], v[58:59], s[38:39]
	v_add_f64 v[100:101], v[100:101], v[108:109]
	v_add_f64 v[102:103], v[102:103], v[110:111]
	v_fma_f64 v[108:109], s[40:41], v[52:53], v[106:107]
	v_mul_f64 v[110:111], v[56:57], s[38:39]
	v_fma_f64 v[106:107], v[52:53], s[40:41], -v[106:107]
	s_mov_b32 s45, 0x3fe0d888
	s_mov_b32 s44, s34
	v_add_f64 v[104:105], v[104:105], v[112:113]
	v_fma_f64 v[112:113], v[54:55], s[40:41], -v[110:111]
	v_add_f64 v[106:107], v[106:107], v[114:115]
	v_fmac_f64_e32 v[110:111], s[40:41], v[54:55]
	v_mul_f64 v[114:115], v[58:59], s[44:45]
	v_add_f64 v[108:109], v[108:109], v[116:117]
	v_add_f64 v[110:111], v[110:111], v[118:119]
	v_fma_f64 v[116:117], s[36:37], v[52:53], v[114:115]
	v_mul_f64 v[118:119], v[56:57], s[44:45]
	v_fma_f64 v[114:115], v[52:53], s[36:37], -v[114:115]
	s_mov_b32 s43, 0x3feec746
	s_mov_b32 s42, s24
	;; [unrolled: 12-line block ×3, first 2 shown]
	v_add_f64 v[120:121], v[120:121], v[130:131]
	v_fma_f64 v[130:131], v[54:55], s[26:27], -v[128:129]
	v_add_f64 v[122:123], v[122:123], v[132:133]
	v_fmac_f64_e32 v[128:129], s[26:27], v[54:55]
	v_mul_f64 v[132:133], v[58:59], s[46:47]
	s_mov_b32 s49, 0x3fd71e95
	s_mov_b32 s48, s6
	v_add_f64 v[126:127], v[126:127], v[134:135]
	v_add_f64 v[128:129], v[128:129], v[136:137]
	v_fma_f64 v[134:135], s[18:19], v[52:53], v[132:133]
	v_mul_f64 v[136:137], v[56:57], s[46:47]
	v_fma_f64 v[132:133], v[52:53], s[18:19], -v[132:133]
	v_mul_f64 v[58:59], v[58:59], s[48:49]
	v_mul_f64 v[56:57], v[56:57], s[48:49]
	v_add_f64 v[130:131], v[130:131], v[138:139]
	v_add_f64 v[134:135], v[134:135], v[142:143]
	v_fma_f64 v[138:139], v[54:55], s[18:19], -v[136:137]
	v_add_f64 v[132:133], v[132:133], v[140:141]
	v_fmac_f64_e32 v[136:137], s[18:19], v[54:55]
	v_fma_f64 v[140:141], s[10:11], v[52:53], v[58:59]
	v_fma_f64 v[142:143], v[54:55], s[10:11], -v[56:57]
	v_fma_f64 v[52:53], v[52:53], s[10:11], -v[58:59]
	v_fmac_f64_e32 v[56:57], s[10:11], v[54:55]
	v_add_f64 v[54:55], v[50:51], v[46:47]
	v_add_f64 v[46:47], v[46:47], -v[50:51]
	v_add_f64 v[40:41], v[52:53], v[40:41]
	v_add_f64 v[52:53], v[48:49], v[44:45]
	v_add_f64 v[44:45], v[44:45], -v[48:49]
	v_mul_f64 v[48:49], v[46:47], s[16:17]
	v_add_f64 v[42:43], v[56:57], v[42:43]
	v_fma_f64 v[50:51], s[18:19], v[52:53], v[48:49]
	v_mul_f64 v[56:57], v[44:45], s[16:17]
	v_fma_f64 v[48:49], v[52:53], s[18:19], -v[48:49]
	v_fma_f64 v[58:59], v[54:55], s[18:19], -v[56:57]
	v_add_f64 v[48:49], v[48:49], v[60:61]
	v_fmac_f64_e32 v[56:57], s[18:19], v[54:55]
	v_mul_f64 v[60:61], v[46:47], s[28:29]
	v_add_f64 v[50:51], v[50:51], v[62:63]
	v_add_f64 v[56:57], v[56:57], v[64:65]
	v_fma_f64 v[62:63], s[30:31], v[52:53], v[60:61]
	v_mul_f64 v[64:65], v[44:45], s[28:29]
	v_fma_f64 v[60:61], v[52:53], s[30:31], -v[60:61]
	s_mov_b32 s51, 0x3fc7851a
	s_mov_b32 s50, s38
	v_add_f64 v[58:59], v[58:59], v[90:91]
	v_fma_f64 v[90:91], v[54:55], s[30:31], -v[64:65]
	v_add_f64 v[60:61], v[60:61], v[66:67]
	v_fmac_f64_e32 v[64:65], s[30:31], v[54:55]
	v_mul_f64 v[66:67], v[46:47], s[50:51]
	v_add_f64 v[62:63], v[62:63], v[92:93]
	v_add_f64 v[64:65], v[64:65], v[94:95]
	v_fma_f64 v[92:93], s[40:41], v[52:53], v[66:67]
	v_mul_f64 v[94:95], v[44:45], s[50:51]
	v_fma_f64 v[66:67], v[52:53], s[40:41], -v[66:67]
	v_add_f64 v[90:91], v[90:91], v[96:97]
	v_fma_f64 v[96:97], v[54:55], s[40:41], -v[94:95]
	v_add_f64 v[66:67], v[66:67], v[98:99]
	v_fmac_f64_e32 v[94:95], s[40:41], v[54:55]
	v_mul_f64 v[98:99], v[46:47], s[42:43]
	v_add_f64 v[92:93], v[92:93], v[100:101]
	v_add_f64 v[94:95], v[94:95], v[102:103]
	v_fma_f64 v[100:101], s[26:27], v[52:53], v[98:99]
	v_mul_f64 v[102:103], v[44:45], s[42:43]
	v_fma_f64 v[98:99], v[52:53], s[26:27], -v[98:99]
	s_mov_b32 s53, 0x3fe58eea
	s_mov_b32 s52, s12
	v_add_f64 v[96:97], v[96:97], v[104:105]
	v_fma_f64 v[104:105], v[54:55], s[26:27], -v[102:103]
	v_add_f64 v[98:99], v[98:99], v[106:107]
	v_fmac_f64_e32 v[102:103], s[26:27], v[54:55]
	v_mul_f64 v[106:107], v[46:47], s[52:53]
	v_add_f64 v[100:101], v[100:101], v[108:109]
	v_add_f64 v[102:103], v[102:103], v[110:111]
	v_fma_f64 v[108:109], s[14:15], v[52:53], v[106:107]
	v_mul_f64 v[110:111], v[44:45], s[52:53]
	v_fma_f64 v[106:107], v[52:53], s[14:15], -v[106:107]
	v_add_f64 v[104:105], v[104:105], v[112:113]
	v_fma_f64 v[112:113], v[54:55], s[14:15], -v[110:111]
	v_add_f64 v[106:107], v[106:107], v[114:115]
	v_fmac_f64_e32 v[110:111], s[14:15], v[54:55]
	v_mul_f64 v[114:115], v[46:47], s[6:7]
	v_add_f64 v[108:109], v[108:109], v[116:117]
	v_add_f64 v[110:111], v[110:111], v[118:119]
	v_fma_f64 v[116:117], s[10:11], v[52:53], v[114:115]
	v_mul_f64 v[118:119], v[44:45], s[6:7]
	v_fma_f64 v[114:115], v[52:53], s[10:11], -v[114:115]
	v_add_f64 v[112:113], v[112:113], v[120:121]
	v_fma_f64 v[120:121], v[54:55], s[10:11], -v[118:119]
	v_add_f64 v[114:115], v[114:115], v[122:123]
	v_fmac_f64_e32 v[118:119], s[10:11], v[54:55]
	v_mul_f64 v[122:123], v[46:47], s[20:21]
	v_add_f64 v[116:117], v[116:117], v[126:127]
	v_add_f64 v[118:119], v[118:119], v[128:129]
	v_fma_f64 v[126:127], s[22:23], v[52:53], v[122:123]
	v_mul_f64 v[128:129], v[44:45], s[20:21]
	v_mul_f64 v[44:45], v[44:45], s[34:35]
	v_add_f64 v[142:143], v[142:143], v[150:151]
	v_add_f64 v[126:127], v[126:127], v[134:135]
	v_fma_f64 v[122:123], v[52:53], s[22:23], -v[122:123]
	v_mul_f64 v[46:47], v[46:47], s[34:35]
	v_fma_f64 v[134:135], v[54:55], s[36:37], -v[44:45]
	v_add_f64 v[136:137], v[136:137], v[144:145]
	v_add_f64 v[140:141], v[140:141], v[148:149]
	;; [unrolled: 1-line block ×3, first 2 shown]
	v_fma_f64 v[130:131], v[54:55], s[22:23], -v[128:129]
	v_add_f64 v[122:123], v[122:123], v[132:133]
	v_fmac_f64_e32 v[128:129], s[22:23], v[54:55]
	v_fma_f64 v[132:133], s[36:37], v[52:53], v[46:47]
	v_add_f64 v[134:135], v[134:135], v[142:143]
	v_add_f64 v[142:143], v[34:35], -v[38:39]
	v_add_f64 v[138:139], v[138:139], v[146:147]
	v_add_f64 v[128:129], v[128:129], v[136:137]
	;; [unrolled: 1-line block ×4, first 2 shown]
	v_add_f64 v[140:141], v[32:33], -v[36:37]
	v_mul_f64 v[32:33], v[142:143], s[20:21]
	v_add_f64 v[130:131], v[130:131], v[138:139]
	v_fmac_f64_e32 v[44:45], s[36:37], v[54:55]
	v_add_f64 v[138:139], v[38:39], v[34:35]
	v_fma_f64 v[34:35], s[22:23], v[136:137], v[32:33]
	v_add_f64 v[42:43], v[44:45], v[42:43]
	v_add_f64 v[44:45], v[34:35], v[50:51]
	v_mul_f64 v[34:35], v[140:141], s[20:21]
	v_fma_f64 v[32:33], v[136:137], s[22:23], -v[32:33]
	v_fma_f64 v[36:37], v[138:139], s[22:23], -v[34:35]
	v_add_f64 v[48:49], v[32:33], v[48:49]
	v_fmac_f64_e32 v[34:35], s[22:23], v[138:139]
	v_mul_f64 v[32:33], v[142:143], s[38:39]
	v_add_f64 v[50:51], v[34:35], v[56:57]
	v_fma_f64 v[34:35], s[40:41], v[136:137], v[32:33]
	v_fma_f64 v[46:47], v[52:53], s[36:37], -v[46:47]
	v_add_f64 v[52:53], v[34:35], v[62:63]
	v_mul_f64 v[34:35], v[140:141], s[38:39]
	v_fma_f64 v[32:33], v[136:137], s[40:41], -v[32:33]
	v_add_f64 v[40:41], v[46:47], v[40:41]
	v_add_f64 v[46:47], v[36:37], v[58:59]
	v_fma_f64 v[36:37], v[138:139], s[40:41], -v[34:35]
	v_add_f64 v[56:57], v[32:33], v[60:61]
	v_fmac_f64_e32 v[34:35], s[40:41], v[138:139]
	v_mul_f64 v[32:33], v[142:143], s[42:43]
	v_add_f64 v[58:59], v[34:35], v[64:65]
	v_fma_f64 v[34:35], s[26:27], v[136:137], v[32:33]
	v_add_f64 v[60:61], v[34:35], v[92:93]
	v_mul_f64 v[34:35], v[140:141], s[42:43]
	v_fma_f64 v[32:33], v[136:137], s[26:27], -v[32:33]
	v_add_f64 v[54:55], v[36:37], v[90:91]
	v_fma_f64 v[36:37], v[138:139], s[26:27], -v[34:35]
	v_add_f64 v[64:65], v[32:33], v[66:67]
	v_fmac_f64_e32 v[34:35], s[26:27], v[138:139]
	v_mul_f64 v[32:33], v[142:143], s[48:49]
	v_add_f64 v[66:67], v[34:35], v[94:95]
	v_fma_f64 v[34:35], s[10:11], v[136:137], v[32:33]
	v_add_f64 v[90:91], v[34:35], v[100:101]
	v_mul_f64 v[34:35], v[140:141], s[48:49]
	v_fma_f64 v[32:33], v[136:137], s[10:11], -v[32:33]
	v_add_f64 v[62:63], v[36:37], v[96:97]
	v_fma_f64 v[36:37], v[138:139], s[10:11], -v[34:35]
	v_add_f64 v[94:95], v[32:33], v[98:99]
	v_fmac_f64_e32 v[34:35], s[10:11], v[138:139]
	v_mul_f64 v[32:33], v[142:143], s[16:17]
	v_add_f64 v[96:97], v[34:35], v[102:103]
	v_fma_f64 v[34:35], s[18:19], v[136:137], v[32:33]
	v_add_f64 v[98:99], v[34:35], v[108:109]
	v_mul_f64 v[34:35], v[140:141], s[16:17]
	v_add_f64 v[92:93], v[36:37], v[104:105]
	v_fma_f64 v[36:37], v[138:139], s[18:19], -v[34:35]
	v_fmac_f64_e32 v[34:35], s[18:19], v[138:139]
	v_mul_f64 v[38:39], v[140:141], s[34:35]
	v_add_f64 v[100:101], v[36:37], v[112:113]
	v_fma_f64 v[32:33], v[136:137], s[18:19], -v[32:33]
	v_add_f64 v[104:105], v[34:35], v[110:111]
	v_mul_f64 v[36:37], v[142:143], s[34:35]
	v_fma_f64 v[34:35], v[138:139], s[36:37], -v[38:39]
	v_fmac_f64_e32 v[38:39], s[36:37], v[138:139]
	v_add_f64 v[102:103], v[32:33], v[106:107]
	v_fma_f64 v[32:33], s[36:37], v[136:137], v[36:37]
	v_fma_f64 v[36:37], v[136:137], s[36:37], -v[36:37]
	v_add_f64 v[38:39], v[38:39], v[118:119]
	v_mul_f64 v[118:119], v[142:143], s[52:53]
	v_add_f64 v[34:35], v[34:35], v[120:121]
	v_add_f64 v[36:37], v[36:37], v[114:115]
	v_fma_f64 v[114:115], s[14:15], v[136:137], v[118:119]
	v_mul_f64 v[120:121], v[140:141], s[52:53]
	v_fma_f64 v[118:119], v[136:137], s[14:15], -v[118:119]
	v_add_f64 v[32:33], v[32:33], v[116:117]
	v_fma_f64 v[116:117], v[138:139], s[14:15], -v[120:121]
	v_add_f64 v[40:41], v[118:119], v[40:41]
	v_fmac_f64_e32 v[120:121], s[14:15], v[138:139]
	v_add_f64 v[118:119], v[30:31], v[26:27]
	v_add_f64 v[26:27], v[26:27], -v[30:31]
	s_mov_b32 s55, 0x3fe9895b
	s_mov_b32 s54, s28
	v_add_f64 v[42:43], v[120:121], v[42:43]
	v_add_f64 v[120:121], v[28:29], v[24:25]
	v_add_f64 v[24:25], v[24:25], -v[28:29]
	v_mul_f64 v[28:29], v[26:27], s[24:25]
	v_mul_f64 v[110:111], v[142:143], s[54:55]
	v_fma_f64 v[30:31], s[26:27], v[120:121], v[28:29]
	v_fma_f64 v[106:107], s[30:31], v[136:137], v[110:111]
	v_fma_f64 v[110:111], v[136:137], s[30:31], -v[110:111]
	v_add_f64 v[30:31], v[30:31], v[44:45]
	v_mul_f64 v[44:45], v[24:25], s[24:25]
	v_fma_f64 v[28:29], v[120:121], s[26:27], -v[28:29]
	v_add_f64 v[110:111], v[110:111], v[122:123]
	v_fma_f64 v[122:123], v[118:119], s[26:27], -v[44:45]
	v_add_f64 v[28:29], v[28:29], v[48:49]
	v_fmac_f64_e32 v[44:45], s[26:27], v[118:119]
	v_mul_f64 v[48:49], v[26:27], s[44:45]
	v_add_f64 v[44:45], v[44:45], v[50:51]
	v_fma_f64 v[50:51], s[36:37], v[120:121], v[48:49]
	v_add_f64 v[50:51], v[50:51], v[52:53]
	v_mul_f64 v[52:53], v[24:25], s[44:45]
	v_fma_f64 v[48:49], v[120:121], s[36:37], -v[48:49]
	v_add_f64 v[46:47], v[122:123], v[46:47]
	v_fma_f64 v[122:123], v[118:119], s[36:37], -v[52:53]
	v_add_f64 v[48:49], v[48:49], v[56:57]
	v_fmac_f64_e32 v[52:53], s[36:37], v[118:119]
	v_mul_f64 v[56:57], v[26:27], s[52:53]
	v_add_f64 v[52:53], v[52:53], v[58:59]
	v_fma_f64 v[58:59], s[14:15], v[120:121], v[56:57]
	;; [unrolled: 10-line block ×4, first 2 shown]
	v_add_f64 v[96:97], v[96:97], v[98:99]
	v_mul_f64 v[98:99], v[24:25], s[38:39]
	v_fma_f64 v[94:95], v[120:121], s[40:41], -v[94:95]
	s_mov_b32 s57, 0x3fefdd0d
	s_mov_b32 s56, s20
	v_add_f64 v[92:93], v[122:123], v[92:93]
	v_fma_f64 v[122:123], v[118:119], s[40:41], -v[98:99]
	v_add_f64 v[94:95], v[94:95], v[102:103]
	v_fmac_f64_e32 v[98:99], s[40:41], v[118:119]
	v_mul_f64 v[102:103], v[26:27], s[56:57]
	v_add_f64 v[98:99], v[98:99], v[104:105]
	v_fma_f64 v[104:105], s[22:23], v[120:121], v[102:103]
	v_add_f64 v[32:33], v[104:105], v[32:33]
	v_mul_f64 v[104:105], v[24:25], s[56:57]
	v_fma_f64 v[102:103], v[120:121], s[22:23], -v[102:103]
	v_add_f64 v[100:101], v[122:123], v[100:101]
	v_fma_f64 v[122:123], v[118:119], s[22:23], -v[104:105]
	v_add_f64 v[36:37], v[102:103], v[36:37]
	v_fmac_f64_e32 v[104:105], s[22:23], v[118:119]
	v_mul_f64 v[102:103], v[26:27], s[6:7]
	v_add_f64 v[106:107], v[106:107], v[126:127]
	v_mul_f64 v[112:113], v[140:141], s[54:55]
	v_add_f64 v[38:39], v[104:105], v[38:39]
	v_fma_f64 v[104:105], s[10:11], v[120:121], v[102:103]
	v_fma_f64 v[108:109], v[138:139], s[30:31], -v[112:113]
	v_fmac_f64_e32 v[112:113], s[30:31], v[138:139]
	v_add_f64 v[104:105], v[104:105], v[106:107]
	v_mul_f64 v[106:107], v[24:25], s[6:7]
	v_add_f64 v[112:113], v[112:113], v[128:129]
	v_add_f64 v[34:35], v[122:123], v[34:35]
	v_fma_f64 v[122:123], v[118:119], s[10:11], -v[106:107]
	v_fmac_f64_e32 v[106:107], s[10:11], v[118:119]
	v_mul_f64 v[24:25], v[24:25], s[28:29]
	v_fma_f64 v[102:103], v[120:121], s[10:11], -v[102:103]
	v_add_f64 v[106:107], v[106:107], v[112:113]
	v_mul_f64 v[26:27], v[26:27], s[28:29]
	v_fma_f64 v[112:113], v[118:119], s[30:31], -v[24:25]
	v_fmac_f64_e32 v[24:25], s[30:31], v[118:119]
	v_add_f64 v[102:103], v[102:103], v[110:111]
	v_fma_f64 v[110:111], s[30:31], v[120:121], v[26:27]
	v_fma_f64 v[26:27], v[120:121], s[30:31], -v[26:27]
	v_add_f64 v[24:25], v[24:25], v[42:43]
	v_add_f64 v[42:43], v[22:23], v[18:19]
	v_add_f64 v[18:19], v[18:19], -v[22:23]
	v_add_f64 v[26:27], v[26:27], v[40:41]
	v_add_f64 v[40:41], v[20:21], v[16:17]
	v_add_f64 v[16:17], v[16:17], -v[20:21]
	v_mul_f64 v[20:21], v[18:19], s[28:29]
	v_fma_f64 v[22:23], s[30:31], v[40:41], v[20:21]
	v_add_f64 v[114:115], v[114:115], v[132:133]
	v_add_f64 v[22:23], v[22:23], v[30:31]
	v_mul_f64 v[30:31], v[16:17], s[28:29]
	v_add_f64 v[110:111], v[110:111], v[114:115]
	v_fma_f64 v[114:115], v[42:43], s[30:31], -v[30:31]
	v_fma_f64 v[20:21], v[40:41], s[30:31], -v[20:21]
	v_fmac_f64_e32 v[30:31], s[30:31], v[42:43]
	v_add_f64 v[20:21], v[20:21], v[28:29]
	v_add_f64 v[28:29], v[30:31], v[44:45]
	v_mul_f64 v[30:31], v[18:19], s[42:43]
	v_fma_f64 v[44:45], s[26:27], v[40:41], v[30:31]
	v_add_f64 v[44:45], v[44:45], v[50:51]
	v_mul_f64 v[50:51], v[16:17], s[42:43]
	v_add_f64 v[46:47], v[114:115], v[46:47]
	v_fma_f64 v[114:115], v[42:43], s[26:27], -v[50:51]
	v_fma_f64 v[30:31], v[40:41], s[26:27], -v[30:31]
	v_fmac_f64_e32 v[50:51], s[26:27], v[42:43]
	v_add_f64 v[30:31], v[30:31], v[48:49]
	v_add_f64 v[48:49], v[50:51], v[52:53]
	v_mul_f64 v[50:51], v[18:19], s[6:7]
	v_fma_f64 v[52:53], s[10:11], v[40:41], v[50:51]
	;; [unrolled: 10-line block ×5, first 2 shown]
	v_add_f64 v[98:99], v[98:99], v[32:33]
	v_mul_f64 v[32:33], v[16:17], s[12:13]
	v_add_f64 v[116:117], v[116:117], v[134:135]
	v_add_f64 v[100:101], v[114:115], v[100:101]
	v_fma_f64 v[114:115], v[42:43], s[14:15], -v[32:33]
	v_fmac_f64_e32 v[32:33], s[14:15], v[42:43]
	v_add_f64 v[108:109], v[108:109], v[130:131]
	v_add_f64 v[112:113], v[112:113], v[116:117]
	;; [unrolled: 1-line block ×3, first 2 shown]
	v_fma_f64 v[34:35], v[40:41], s[14:15], -v[96:97]
	v_add_f64 v[116:117], v[32:33], v[38:39]
	v_mul_f64 v[32:33], v[18:19], s[38:39]
	v_add_f64 v[130:131], v[10:11], -v[14:15]
	v_add_f64 v[108:109], v[122:123], v[108:109]
	v_add_f64 v[96:97], v[34:35], v[36:37]
	v_fma_f64 v[34:35], s[40:41], v[40:41], v[32:33]
	v_fma_f64 v[32:33], v[40:41], s[40:41], -v[32:33]
	v_mul_f64 v[18:19], v[18:19], s[46:47]
	v_add_f64 v[122:123], v[12:13], v[8:9]
	v_add_f64 v[128:129], v[8:9], -v[12:13]
	v_mul_f64 v[12:13], v[130:131], s[34:35]
	v_add_f64 v[104:105], v[34:35], v[104:105]
	v_mul_f64 v[34:35], v[16:17], s[38:39]
	v_add_f64 v[102:103], v[32:33], v[102:103]
	v_fma_f64 v[32:33], s[18:19], v[40:41], v[18:19]
	v_mul_f64 v[16:17], v[16:17], s[46:47]
	v_fma_f64 v[8:9], s[36:37], v[122:123], v[12:13]
	v_fma_f64 v[12:13], v[122:123], s[36:37], -v[12:13]
	v_add_f64 v[110:111], v[32:33], v[110:111]
	v_fma_f64 v[32:33], v[42:43], s[18:19], -v[16:17]
	v_fmac_f64_e32 v[16:17], s[18:19], v[42:43]
	v_add_f64 v[126:127], v[14:15], v[10:11]
	v_mul_f64 v[14:15], v[128:129], s[34:35]
	v_add_f64 v[12:13], v[12:13], v[20:21]
	v_mul_f64 v[20:21], v[130:131], s[46:47]
	v_fma_f64 v[18:19], v[40:41], s[18:19], -v[18:19]
	v_add_f64 v[120:121], v[16:17], v[24:25]
	v_add_f64 v[8:9], v[8:9], v[22:23]
	v_fma_f64 v[10:11], v[126:127], s[36:37], -v[14:15]
	v_fmac_f64_e32 v[14:15], s[36:37], v[126:127]
	v_fma_f64 v[16:17], s[18:19], v[122:123], v[20:21]
	v_mul_f64 v[22:23], v[128:129], s[46:47]
	v_add_f64 v[118:119], v[18:19], v[26:27]
	v_add_f64 v[14:15], v[14:15], v[28:29]
	;; [unrolled: 1-line block ×3, first 2 shown]
	v_fma_f64 v[18:19], v[126:127], s[18:19], -v[22:23]
	v_mul_f64 v[28:29], v[130:131], s[20:21]
	v_mul_f64 v[44:45], v[130:131], s[6:7]
	v_fma_f64 v[36:37], v[42:43], s[40:41], -v[34:35]
	v_fmac_f64_e32 v[34:35], s[40:41], v[42:43]
	v_add_f64 v[18:19], v[18:19], v[54:55]
	v_fma_f64 v[24:25], s[22:23], v[122:123], v[28:29]
	v_fma_f64 v[28:29], v[122:123], s[22:23], -v[28:29]
	v_mul_f64 v[38:39], v[128:129], s[54:55]
	v_fma_f64 v[40:41], s[10:11], v[122:123], v[44:45]
	v_mul_f64 v[54:55], v[128:129], s[38:39]
	v_add_f64 v[106:107], v[34:35], v[106:107]
	v_add_f64 v[28:29], v[28:29], v[50:51]
	v_fma_f64 v[34:35], v[126:127], s[30:31], -v[38:39]
	v_fmac_f64_e32 v[38:39], s[30:31], v[126:127]
	v_add_f64 v[40:41], v[40:41], v[90:91]
	v_fma_f64 v[50:51], v[126:127], s[40:41], -v[54:55]
	v_fmac_f64_e32 v[54:55], s[40:41], v[126:127]
	v_mul_f64 v[90:91], v[130:131], s[24:25]
	v_add_f64 v[34:35], v[34:35], v[92:93]
	v_add_f64 v[38:39], v[38:39], v[64:65]
	v_fma_f64 v[44:45], v[122:123], s[10:11], -v[44:45]
	v_add_f64 v[54:55], v[54:55], v[116:117]
	v_fma_f64 v[64:65], s[26:27], v[122:123], v[90:91]
	v_mul_f64 v[92:93], v[128:129], s[24:25]
	v_add_f64 v[116:117], v[2:3], -v[6:7]
	v_add_f64 v[112:113], v[32:33], v[112:113]
	v_fma_f64 v[20:21], v[122:123], s[18:19], -v[20:21]
	v_add_f64 v[44:45], v[44:45], v[66:67]
	v_add_f64 v[50:51], v[50:51], v[114:115]
	;; [unrolled: 1-line block ×3, first 2 shown]
	v_fma_f64 v[66:67], v[126:127], s[26:27], -v[92:93]
	v_add_f64 v[110:111], v[4:5], v[0:1]
	v_add_f64 v[114:115], v[0:1], -v[4:5]
	v_mul_f64 v[0:1], v[116:117], s[38:39]
	v_add_f64 v[20:21], v[20:21], v[30:31]
	v_mul_f64 v[30:31], v[128:129], s[20:21]
	v_add_f64 v[66:67], v[66:67], v[112:113]
	v_fmac_f64_e32 v[92:93], s[26:27], v[126:127]
	v_add_f64 v[112:113], v[6:7], v[2:3]
	v_fma_f64 v[2:3], s[40:41], v[110:111], v[0:1]
	v_add_f64 v[108:109], v[36:37], v[108:109]
	v_add_f64 v[10:11], v[10:11], v[46:47]
	v_fma_f64 v[26:27], v[126:127], s[22:23], -v[30:31]
	v_mul_f64 v[36:37], v[130:131], s[54:55]
	v_mul_f64 v[46:47], v[128:129], s[6:7]
	v_add_f64 v[92:93], v[92:93], v[120:121]
	v_add_f64 v[120:121], v[2:3], v[8:9]
	v_mul_f64 v[2:3], v[114:115], s[38:39]
	v_add_f64 v[26:27], v[26:27], v[62:63]
	v_fma_f64 v[32:33], s[30:31], v[122:123], v[36:37]
	v_fma_f64 v[36:37], v[122:123], s[30:31], -v[36:37]
	v_fma_f64 v[42:43], v[126:127], s[10:11], -v[46:47]
	v_fmac_f64_e32 v[46:47], s[10:11], v[126:127]
	v_mul_f64 v[62:63], v[128:129], s[52:53]
	v_fma_f64 v[4:5], v[112:113], s[40:41], -v[2:3]
	v_fmac_f64_e32 v[2:3], s[40:41], v[112:113]
	v_add_f64 v[36:37], v[36:37], v[58:59]
	v_add_f64 v[46:47], v[46:47], v[94:95]
	v_fma_f64 v[58:59], v[126:127], s[14:15], -v[62:63]
	v_add_f64 v[94:95], v[2:3], v[14:15]
	v_mul_f64 v[2:3], v[116:117], s[48:49]
	v_add_f64 v[58:59], v[58:59], v[108:109]
	v_add_f64 v[108:109], v[4:5], v[10:11]
	v_fma_f64 v[4:5], s[10:11], v[110:111], v[2:3]
	v_fmac_f64_e32 v[22:23], s[18:19], v[126:127]
	v_add_f64 v[42:43], v[42:43], v[100:101]
	v_add_f64 v[100:101], v[4:5], v[16:17]
	v_mul_f64 v[4:5], v[114:115], s[48:49]
	v_add_f64 v[22:23], v[22:23], v[48:49]
	v_fmac_f64_e32 v[30:31], s[22:23], v[126:127]
	v_add_f64 v[32:33], v[32:33], v[60:61]
	v_mul_f64 v[60:61], v[130:131], s[52:53]
	v_fma_f64 v[6:7], v[112:113], s[10:11], -v[4:5]
	v_fmac_f64_e32 v[4:5], s[10:11], v[112:113]
	v_add_f64 v[30:31], v[30:31], v[56:57]
	v_fma_f64 v[56:57], s[14:15], v[122:123], v[60:61]
	v_fma_f64 v[60:61], v[122:123], s[14:15], -v[60:61]
	v_add_f64 v[16:17], v[4:5], v[22:23]
	v_mul_f64 v[4:5], v[116:117], s[34:35]
	v_add_f64 v[24:25], v[24:25], v[52:53]
	v_add_f64 v[60:61], v[60:61], v[102:103]
	;; [unrolled: 1-line block ×3, first 2 shown]
	v_fma_f64 v[6:7], s[36:37], v[110:111], v[4:5]
	v_add_f64 v[56:57], v[56:57], v[104:105]
	v_add_f64 v[104:105], v[6:7], v[24:25]
	v_mul_f64 v[6:7], v[114:115], s[34:35]
	v_fma_f64 v[8:9], v[112:113], s[36:37], -v[6:7]
	v_fmac_f64_e32 v[6:7], s[36:37], v[112:113]
	v_mul_f64 v[52:53], v[130:131], s[38:39]
	v_fmac_f64_e32 v[62:63], s[14:15], v[126:127]
	v_add_f64 v[18:19], v[6:7], v[30:31]
	v_mul_f64 v[6:7], v[116:117], s[52:53]
	v_fma_f64 v[48:49], s[40:41], v[122:123], v[52:53]
	v_fma_f64 v[52:53], v[122:123], s[40:41], -v[52:53]
	v_add_f64 v[62:63], v[62:63], v[106:107]
	v_add_f64 v[106:107], v[8:9], v[26:27]
	v_fma_f64 v[8:9], s[14:15], v[110:111], v[6:7]
	v_add_f64 v[52:53], v[52:53], v[96:97]
	v_add_f64 v[96:97], v[8:9], v[32:33]
	v_mul_f64 v[8:9], v[114:115], s[52:53]
	v_fma_f64 v[2:3], v[110:111], s[10:11], -v[2:3]
	v_fma_f64 v[10:11], v[112:113], s[14:15], -v[8:9]
	v_fmac_f64_e32 v[8:9], s[14:15], v[112:113]
	v_add_f64 v[2:3], v[2:3], v[20:21]
	v_add_f64 v[20:21], v[8:9], v[38:39]
	v_mul_f64 v[8:9], v[116:117], s[28:29]
	v_add_f64 v[24:25], v[10:11], v[34:35]
	v_fma_f64 v[10:11], s[30:31], v[110:111], v[8:9]
	v_add_f64 v[48:49], v[48:49], v[98:99]
	v_fma_f64 v[0:1], v[110:111], s[40:41], -v[0:1]
	v_add_f64 v[98:99], v[10:11], v[40:41]
	v_mul_f64 v[10:11], v[114:115], s[28:29]
	v_add_f64 v[0:1], v[0:1], v[12:13]
	v_fma_f64 v[12:13], v[112:113], s[30:31], -v[10:11]
	v_fmac_f64_e32 v[10:11], s[30:31], v[112:113]
	v_fma_f64 v[4:5], v[110:111], s[36:37], -v[4:5]
	v_add_f64 v[22:23], v[10:11], v[46:47]
	v_mul_f64 v[10:11], v[116:117], s[46:47]
	v_add_f64 v[4:5], v[4:5], v[28:29]
	v_add_f64 v[28:29], v[12:13], v[42:43]
	v_fma_f64 v[12:13], s[18:19], v[110:111], v[10:11]
	v_add_f64 v[42:43], v[12:13], v[48:49]
	v_mul_f64 v[12:13], v[114:115], s[46:47]
	v_fma_f64 v[14:15], v[112:113], s[18:19], -v[12:13]
	v_fmac_f64_e32 v[12:13], s[18:19], v[112:113]
	v_add_f64 v[26:27], v[12:13], v[54:55]
	v_mul_f64 v[12:13], v[116:117], s[24:25]
	v_fma_f64 v[8:9], v[110:111], s[30:31], -v[8:9]
	v_add_f64 v[30:31], v[14:15], v[50:51]
	v_fma_f64 v[14:15], s[26:27], v[110:111], v[12:13]
	v_add_f64 v[8:9], v[8:9], v[44:45]
	v_add_f64 v[44:45], v[14:15], v[56:57]
	v_mul_f64 v[14:15], v[114:115], s[24:25]
	v_mul_u32_u24_e32 v73, 0x242, v73
	v_fma_f64 v[90:91], v[122:123], s[26:27], -v[90:91]
	v_fma_f64 v[6:7], v[110:111], s[14:15], -v[6:7]
	;; [unrolled: 1-line block ×3, first 2 shown]
	v_fmac_f64_e32 v[14:15], s[26:27], v[112:113]
	v_mul_f64 v[38:39], v[116:117], s[56:57]
	v_mul_f64 v[46:47], v[114:115], s[56:57]
	v_add_f64 v[90:91], v[90:91], v[118:119]
	v_add_f64 v[6:7], v[6:7], v[36:37]
	;; [unrolled: 1-line block ×4, first 2 shown]
	v_fma_f64 v[14:15], s[22:23], v[110:111], v[38:39]
	v_fma_f64 v[36:37], v[112:113], s[22:23], -v[46:47]
	v_fma_f64 v[38:39], v[110:111], s[22:23], -v[38:39]
	v_fmac_f64_e32 v[46:47], s[22:23], v[112:113]
	v_lshlrev_b32_e32 v118, 3, v73
	v_add_f64 v[40:41], v[38:39], v[90:91]
	v_add_f64 v[38:39], v[46:47], v[92:93]
	v_add_u32_e32 v47, 0, v118
	s_movk_i32 s0, 0x88
	v_fma_f64 v[10:11], v[110:111], s[18:19], -v[10:11]
	v_fma_f64 v[12:13], v[110:111], s[26:27], -v[12:13]
	v_mad_u32_u24 v46, v68, s0, v47
	v_add_f64 v[10:11], v[10:11], v[52:53]
	v_add_f64 v[12:13], v[12:13], v[60:61]
	;; [unrolled: 1-line block ×3, first 2 shown]
	ds_write2_b64 v46, v[88:89], v[120:121] offset1:1
	ds_write2_b64 v46, v[100:101], v[104:105] offset0:2 offset1:3
	ds_write2_b64 v46, v[96:97], v[98:99] offset0:4 offset1:5
	;; [unrolled: 1-line block ×7, first 2 shown]
	ds_write_b64 v46, v[0:1] offset:128
	v_lshlrev_b32_e32 v0, 3, v68
	v_add3_u32 v125, 0, v0, v118
	v_subrev_u32_e32 v48, 17, v68
	v_cmp_gt_u32_e64 s[0:1], 17, v68
	v_add_u32_e32 v49, v47, v0
	v_lshl_add_u32 v79, v78, 3, v47
	v_lshl_add_u32 v83, v69, 3, v47
	v_add_u32_e32 v127, 0x800, v125
	v_add_u32_e32 v128, 0xc00, v125
	v_cndmask_b32_e64 v119, v48, v68, s[0:1]
	v_add_f64 v[36:37], v[36:37], v[66:67]
	s_waitcnt lgkmcnt(0)
	s_barrier
	v_lshl_add_u32 v73, v84, 3, v47
	v_lshl_add_u32 v75, v74, 3, v47
	;; [unrolled: 1-line block ×3, first 2 shown]
	ds_read_b64 v[104:105], v49
	ds_read_b64 v[54:55], v73
	ds_read_b64 v[52:53], v75
	ds_read_b64 v[50:51], v77
	v_lshl_add_u32 v81, v80, 3, v47
	v_lshl_add_u32 v85, v82, 3, v47
	;; [unrolled: 1-line block ×3, first 2 shown]
	ds_read_b64 v[100:101], v79
	ds_read_b64 v[98:99], v81
	;; [unrolled: 1-line block ×5, first 2 shown]
	ds_read2_b64 v[12:15], v127 offset0:50 offset1:84
	ds_read2_b64 v[8:11], v127 offset0:118 offset1:152
	;; [unrolled: 1-line block ×4, first 2 shown]
	s_waitcnt lgkmcnt(0)
	s_barrier
	ds_write2_b64 v46, v[86:87], v[108:109] offset1:1
	ds_write2_b64 v46, v[102:103], v[106:107] offset0:2 offset1:3
	ds_write2_b64 v46, v[24:25], v[28:29] offset0:4 offset1:5
	;; [unrolled: 1-line block ×7, first 2 shown]
	ds_write_b64 v46, v[94:95] offset:128
	v_lshlrev_b32_e32 v16, 4, v119
	v_mov_b32_e32 v17, 0
	v_lshl_add_u64 v[56:57], v[16:17], 4, s[4:5]
	s_waitcnt lgkmcnt(0)
	s_barrier
	global_load_dwordx4 v[32:35], v[56:57], off
	global_load_dwordx4 v[24:27], v[56:57], off offset:16
	global_load_dwordx4 v[20:23], v[56:57], off offset:32
	;; [unrolled: 1-line block ×15, first 2 shown]
	ds_read_b64 v[60:61], v49
	ds_read_b64 v[56:57], v73
	;; [unrolled: 1-line block ×9, first 2 shown]
	ds_read2_b64 v[146:149], v127 offset0:50 offset1:84
	ds_read2_b64 v[150:153], v127 offset0:118 offset1:152
	;; [unrolled: 1-line block ×4, first 2 shown]
	v_cmp_lt_u32_e64 s[2:3], 16, v68
	v_lshlrev_b32_e32 v119, 3, v119
	s_waitcnt lgkmcnt(0)
	s_barrier
	s_waitcnt vmcnt(15)
	v_mul_f64 v[88:89], v[56:57], v[34:35]
	v_mul_f64 v[34:35], v[54:55], v[34:35]
	s_waitcnt vmcnt(14)
	v_mul_f64 v[62:63], v[58:59], v[26:27]
	v_fma_f64 v[90:91], v[56:57], v[32:33], -v[34:35]
	v_fmac_f64_e32 v[62:63], v[52:53], v[24:25]
	v_mul_f64 v[26:27], v[52:53], v[26:27]
	s_waitcnt vmcnt(13)
	v_mul_f64 v[56:57], v[86:87], v[22:23]
	s_waitcnt vmcnt(12)
	v_mul_f64 v[52:53], v[94:95], v[18:19]
	v_mul_f64 v[18:19], v[100:101], v[18:19]
	v_fmac_f64_e32 v[88:89], v[54:55], v[32:33]
	v_fmac_f64_e32 v[56:57], v[50:51], v[20:21]
	v_mul_f64 v[22:23], v[50:51], v[22:23]
	v_fmac_f64_e32 v[52:53], v[100:101], v[16:17]
	v_fma_f64 v[54:55], v[94:95], v[16:17], -v[18:19]
	s_waitcnt vmcnt(11)
	v_mul_f64 v[50:51], v[102:103], v[46:47]
	v_mul_f64 v[16:17], v[98:99], v[46:47]
	v_fmac_f64_e32 v[50:51], v[98:99], v[44:45]
	v_fma_f64 v[44:45], v[102:103], v[44:45], -v[16:17]
	s_waitcnt vmcnt(10)
	v_mul_f64 v[16:17], v[96:97], v[42:43]
	v_fma_f64 v[34:35], v[162:163], v[40:41], -v[16:17]
	s_waitcnt vmcnt(9)
	v_mul_f64 v[16:17], v[92:93], v[38:39]
	s_waitcnt vmcnt(3)
	v_mul_f64 v[46:47], v[154:155], v[132:133]
	v_fma_f64 v[66:67], v[58:59], v[24:25], -v[26:27]
	v_fma_f64 v[26:27], v[164:165], v[36:37], -v[16:17]
	v_mul_f64 v[16:17], v[166:167], v[30:31]
	v_fmac_f64_e32 v[46:47], v[0:1], v[130:131]
	v_mul_f64 v[0:1], v[0:1], v[132:133]
	v_fmac_f64_e32 v[16:17], v[64:65], v[28:29]
	v_mul_f64 v[18:19], v[64:65], v[30:31]
	v_fma_f64 v[64:65], v[154:155], v[130:131], -v[0:1]
	s_waitcnt vmcnt(2)
	v_mul_f64 v[0:1], v[2:3], v[136:137]
	v_mul_f64 v[24:25], v[164:165], v[38:39]
	v_fma_f64 v[94:95], v[156:157], v[134:135], -v[0:1]
	s_waitcnt vmcnt(1)
	v_mul_f64 v[0:1], v[4:5], v[140:141]
	v_fma_f64 v[58:59], v[86:87], v[20:21], -v[22:23]
	v_mul_f64 v[32:33], v[162:163], v[42:43]
	v_fmac_f64_e32 v[24:25], v[92:93], v[36:37]
	v_mul_f64 v[20:21], v[146:147], v[108:109]
	v_mul_f64 v[36:37], v[150:151], v[116:117]
	v_fma_f64 v[98:99], v[158:159], v[138:139], -v[0:1]
	s_waitcnt vmcnt(0)
	v_mul_f64 v[0:1], v[6:7], v[144:145]
	v_fmac_f64_e32 v[32:33], v[96:97], v[40:41]
	v_fmac_f64_e32 v[20:21], v[12:13], v[106:107]
	v_mul_f64 v[12:13], v[12:13], v[108:109]
	v_fmac_f64_e32 v[36:37], v[8:9], v[114:115]
	v_mul_f64 v[8:9], v[8:9], v[116:117]
	v_mul_f64 v[96:97], v[158:159], v[140:141]
	v_mul_f64 v[100:101], v[160:161], v[144:145]
	v_fma_f64 v[102:103], v[160:161], v[142:143], -v[0:1]
	v_fma_f64 v[18:19], v[166:167], v[28:29], -v[18:19]
	;; [unrolled: 1-line block ×3, first 2 shown]
	v_mul_f64 v[28:29], v[148:149], v[112:113]
	v_mul_f64 v[12:13], v[14:15], v[112:113]
	v_fma_f64 v[38:39], v[150:151], v[114:115], -v[8:9]
	v_mul_f64 v[40:41], v[152:153], v[122:123]
	v_mul_f64 v[8:9], v[10:11], v[122:123]
	;; [unrolled: 1-line block ×3, first 2 shown]
	v_fmac_f64_e32 v[96:97], v[4:5], v[138:139]
	v_fmac_f64_e32 v[100:101], v[6:7], v[142:143]
	v_add_f64 v[4:5], v[90:91], -v[102:103]
	v_fmac_f64_e32 v[28:29], v[14:15], v[110:111]
	v_fma_f64 v[30:31], v[148:149], v[110:111], -v[12:13]
	v_fmac_f64_e32 v[40:41], v[10:11], v[120:121]
	v_fma_f64 v[42:43], v[152:153], v[120:121], -v[8:9]
	v_fmac_f64_e32 v[92:93], v[2:3], v[134:135]
	v_add_f64 v[2:3], v[88:89], v[100:101]
	v_mul_f64 v[6:7], v[4:5], s[6:7]
	v_mul_f64 v[10:11], v[4:5], s[12:13]
	;; [unrolled: 1-line block ×8, first 2 shown]
	v_fma_f64 v[8:9], s[10:11], v[2:3], v[6:7]
	v_fma_f64 v[6:7], v[2:3], s[10:11], -v[6:7]
	v_fma_f64 v[12:13], s[14:15], v[2:3], v[10:11]
	v_fma_f64 v[10:11], v[2:3], s[14:15], -v[10:11]
	;; [unrolled: 2-line block ×8, first 2 shown]
	v_add_f64 v[0:1], v[104:105], v[88:89]
	v_add_f64 v[8:9], v[104:105], v[8:9]
	v_add_f64 v[6:7], v[104:105], v[6:7]
	v_add_f64 v[12:13], v[104:105], v[12:13]
	v_add_f64 v[10:11], v[104:105], v[10:11]
	v_add_f64 v[86:87], v[104:105], v[86:87]
	v_add_f64 v[14:15], v[104:105], v[14:15]
	v_add_f64 v[108:109], v[104:105], v[108:109]
	v_add_f64 v[106:107], v[104:105], v[106:107]
	v_add_f64 v[112:113], v[104:105], v[112:113]
	v_add_f64 v[110:111], v[104:105], v[110:111]
	v_add_f64 v[116:117], v[104:105], v[116:117]
	v_add_f64 v[114:115], v[104:105], v[114:115]
	v_add_f64 v[122:123], v[104:105], v[122:123]
	v_add_f64 v[120:121], v[104:105], v[120:121]
	v_add_f64 v[130:131], v[104:105], v[130:131]
	v_add_f64 v[2:3], v[104:105], v[2:3]
	v_add_f64 v[104:105], v[66:67], -v[98:99]
	v_add_f64 v[4:5], v[62:63], v[96:97]
	v_mul_f64 v[132:133], v[104:105], s[12:13]
	v_fma_f64 v[134:135], s[14:15], v[4:5], v[132:133]
	v_fma_f64 v[132:133], v[4:5], s[14:15], -v[132:133]
	v_add_f64 v[6:7], v[132:133], v[6:7]
	v_mul_f64 v[132:133], v[104:105], s[20:21]
	v_add_f64 v[8:9], v[134:135], v[8:9]
	v_fma_f64 v[134:135], s[22:23], v[4:5], v[132:133]
	v_fma_f64 v[132:133], v[4:5], s[22:23], -v[132:133]
	v_add_f64 v[10:11], v[132:133], v[10:11]
	v_mul_f64 v[132:133], v[104:105], s[28:29]
	v_add_f64 v[12:13], v[134:135], v[12:13]
	v_fma_f64 v[134:135], s[30:31], v[4:5], v[132:133]
	v_fma_f64 v[132:133], v[4:5], s[30:31], -v[132:133]
	v_add_f64 v[14:15], v[132:133], v[14:15]
	v_mul_f64 v[132:133], v[104:105], s[38:39]
	v_add_f64 v[86:87], v[134:135], v[86:87]
	v_fma_f64 v[134:135], s[40:41], v[4:5], v[132:133]
	v_fma_f64 v[132:133], v[4:5], s[40:41], -v[132:133]
	v_add_f64 v[106:107], v[132:133], v[106:107]
	v_mul_f64 v[132:133], v[104:105], s[44:45]
	v_add_f64 v[108:109], v[134:135], v[108:109]
	v_fma_f64 v[134:135], s[36:37], v[4:5], v[132:133]
	v_fma_f64 v[132:133], v[4:5], s[36:37], -v[132:133]
	v_add_f64 v[110:111], v[132:133], v[110:111]
	v_mul_f64 v[132:133], v[104:105], s[42:43]
	v_add_f64 v[112:113], v[134:135], v[112:113]
	v_fma_f64 v[134:135], s[26:27], v[4:5], v[132:133]
	v_fma_f64 v[132:133], v[4:5], s[26:27], -v[132:133]
	v_add_f64 v[114:115], v[132:133], v[114:115]
	v_mul_f64 v[132:133], v[104:105], s[46:47]
	v_add_f64 v[116:117], v[134:135], v[116:117]
	v_fma_f64 v[134:135], s[18:19], v[4:5], v[132:133]
	v_fma_f64 v[132:133], v[4:5], s[18:19], -v[132:133]
	v_mul_f64 v[104:105], v[104:105], s[48:49]
	v_add_f64 v[120:121], v[132:133], v[120:121]
	v_fma_f64 v[132:133], s[10:11], v[4:5], v[104:105]
	v_fma_f64 v[4:5], v[4:5], s[10:11], -v[104:105]
	v_add_f64 v[104:105], v[58:59], -v[94:95]
	v_add_f64 v[130:131], v[132:133], v[130:131]
	v_add_f64 v[2:3], v[4:5], v[2:3]
	v_add_f64 v[4:5], v[56:57], v[92:93]
	v_mul_f64 v[132:133], v[104:105], s[16:17]
	v_add_f64 v[122:123], v[134:135], v[122:123]
	v_fma_f64 v[134:135], s[18:19], v[4:5], v[132:133]
	v_fma_f64 v[132:133], v[4:5], s[18:19], -v[132:133]
	v_add_f64 v[6:7], v[132:133], v[6:7]
	v_mul_f64 v[132:133], v[104:105], s[28:29]
	v_add_f64 v[8:9], v[134:135], v[8:9]
	v_fma_f64 v[134:135], s[30:31], v[4:5], v[132:133]
	v_fma_f64 v[132:133], v[4:5], s[30:31], -v[132:133]
	v_add_f64 v[10:11], v[132:133], v[10:11]
	v_mul_f64 v[132:133], v[104:105], s[50:51]
	v_add_f64 v[12:13], v[134:135], v[12:13]
	v_fma_f64 v[134:135], s[40:41], v[4:5], v[132:133]
	v_fma_f64 v[132:133], v[4:5], s[40:41], -v[132:133]
	v_add_f64 v[14:15], v[132:133], v[14:15]
	v_mul_f64 v[132:133], v[104:105], s[42:43]
	v_add_f64 v[86:87], v[134:135], v[86:87]
	v_fma_f64 v[134:135], s[26:27], v[4:5], v[132:133]
	v_fma_f64 v[132:133], v[4:5], s[26:27], -v[132:133]
	v_add_f64 v[106:107], v[132:133], v[106:107]
	v_mul_f64 v[132:133], v[104:105], s[52:53]
	v_add_f64 v[108:109], v[134:135], v[108:109]
	v_fma_f64 v[134:135], s[14:15], v[4:5], v[132:133]
	v_fma_f64 v[132:133], v[4:5], s[14:15], -v[132:133]
	v_add_f64 v[110:111], v[132:133], v[110:111]
	v_mul_f64 v[132:133], v[104:105], s[6:7]
	v_add_f64 v[112:113], v[134:135], v[112:113]
	v_fma_f64 v[134:135], s[10:11], v[4:5], v[132:133]
	v_fma_f64 v[132:133], v[4:5], s[10:11], -v[132:133]
	v_add_f64 v[114:115], v[132:133], v[114:115]
	v_mul_f64 v[132:133], v[104:105], s[20:21]
	v_add_f64 v[116:117], v[134:135], v[116:117]
	v_fma_f64 v[134:135], s[22:23], v[4:5], v[132:133]
	v_fma_f64 v[132:133], v[4:5], s[22:23], -v[132:133]
	v_mul_f64 v[104:105], v[104:105], s[34:35]
	v_add_f64 v[120:121], v[132:133], v[120:121]
	v_fma_f64 v[132:133], s[36:37], v[4:5], v[104:105]
	v_fma_f64 v[4:5], v[4:5], s[36:37], -v[104:105]
	v_add_f64 v[104:105], v[54:55], -v[64:65]
	v_add_f64 v[130:131], v[132:133], v[130:131]
	v_add_f64 v[2:3], v[4:5], v[2:3]
	v_add_f64 v[4:5], v[52:53], v[46:47]
	v_mul_f64 v[132:133], v[104:105], s[20:21]
	v_add_f64 v[122:123], v[134:135], v[122:123]
	;; [unrolled: 42-line block ×5, first 2 shown]
	v_fma_f64 v[134:135], s[36:37], v[4:5], v[132:133]
	v_fma_f64 v[132:133], v[4:5], s[36:37], -v[132:133]
	v_add_f64 v[6:7], v[132:133], v[6:7]
	v_mul_f64 v[132:133], v[104:105], s[46:47]
	v_add_f64 v[8:9], v[134:135], v[8:9]
	v_fma_f64 v[134:135], s[18:19], v[4:5], v[132:133]
	v_fma_f64 v[132:133], v[4:5], s[18:19], -v[132:133]
	v_add_f64 v[10:11], v[132:133], v[10:11]
	v_mul_f64 v[132:133], v[104:105], s[20:21]
	v_add_f64 v[12:13], v[134:135], v[12:13]
	v_fma_f64 v[134:135], s[22:23], v[4:5], v[132:133]
	v_add_f64 v[134:135], v[134:135], v[86:87]
	v_fma_f64 v[86:87], v[4:5], s[22:23], -v[132:133]
	v_add_f64 v[14:15], v[86:87], v[14:15]
	v_mul_f64 v[86:87], v[104:105], s[54:55]
	v_fma_f64 v[132:133], s[30:31], v[4:5], v[86:87]
	v_fma_f64 v[86:87], v[4:5], s[30:31], -v[86:87]
	v_add_f64 v[106:107], v[86:87], v[106:107]
	v_mul_f64 v[86:87], v[104:105], s[6:7]
	v_add_f64 v[108:109], v[132:133], v[108:109]
	v_fma_f64 v[132:133], s[10:11], v[4:5], v[86:87]
	v_fma_f64 v[86:87], v[4:5], s[10:11], -v[86:87]
	v_add_f64 v[112:113], v[132:133], v[112:113]
	v_add_f64 v[132:133], v[86:87], v[110:111]
	v_mul_f64 v[86:87], v[104:105], s[38:39]
	v_fma_f64 v[110:111], s[40:41], v[4:5], v[86:87]
	v_fma_f64 v[86:87], v[4:5], s[40:41], -v[86:87]
	v_add_f64 v[138:139], v[86:87], v[114:115]
	v_mul_f64 v[86:87], v[104:105], s[52:53]
	v_add_f64 v[136:137], v[110:111], v[116:117]
	v_fma_f64 v[110:111], s[14:15], v[4:5], v[86:87]
	v_fma_f64 v[86:87], v[4:5], s[14:15], -v[86:87]
	v_add_f64 v[120:121], v[86:87], v[120:121]
	v_mul_f64 v[86:87], v[104:105], s[24:25]
	v_fma_f64 v[104:105], s[26:27], v[4:5], v[86:87]
	v_fma_f64 v[4:5], v[4:5], s[26:27], -v[86:87]
	v_add_f64 v[142:143], v[18:19], -v[22:23]
	v_add_f64 v[104:105], v[104:105], v[130:131]
	v_add_f64 v[130:131], v[4:5], v[2:3]
	v_add_f64 v[140:141], v[16:17], v[20:21]
	v_mul_f64 v[2:3], v[142:143], s[38:39]
	v_fma_f64 v[4:5], s[40:41], v[140:141], v[2:3]
	v_fma_f64 v[2:3], v[140:141], s[40:41], -v[2:3]
	v_add_f64 v[86:87], v[2:3], v[6:7]
	v_mul_f64 v[2:3], v[142:143], s[48:49]
	v_add_f64 v[144:145], v[4:5], v[8:9]
	v_fma_f64 v[4:5], s[10:11], v[140:141], v[2:3]
	v_add_f64 v[114:115], v[4:5], v[12:13]
	v_mul_f64 v[4:5], v[142:143], s[34:35]
	v_add_f64 v[0:1], v[0:1], v[62:63]
	v_fma_f64 v[6:7], s[36:37], v[140:141], v[4:5]
	v_add_f64 v[0:1], v[0:1], v[56:57]
	v_add_f64 v[116:117], v[6:7], v[134:135]
	v_mul_f64 v[6:7], v[142:143], s[52:53]
	v_add_f64 v[0:1], v[0:1], v[52:53]
	v_fma_f64 v[8:9], s[14:15], v[140:141], v[6:7]
	v_add_f64 v[0:1], v[0:1], v[50:51]
	v_add_f64 v[122:123], v[110:111], v[122:123]
	v_fma_f64 v[2:3], v[140:141], s[10:11], -v[2:3]
	v_add_f64 v[110:111], v[8:9], v[108:109]
	v_mul_f64 v[8:9], v[142:143], s[28:29]
	v_add_f64 v[0:1], v[0:1], v[32:33]
	v_add_f64 v[2:3], v[2:3], v[10:11]
	v_fma_f64 v[10:11], s[30:31], v[140:141], v[8:9]
	v_add_f64 v[0:1], v[0:1], v[24:25]
	v_add_f64 v[112:113], v[10:11], v[112:113]
	v_mul_f64 v[10:11], v[142:143], s[46:47]
	v_add_f64 v[0:1], v[0:1], v[16:17]
	v_fma_f64 v[6:7], v[140:141], s[14:15], -v[6:7]
	v_fma_f64 v[12:13], s[18:19], v[140:141], v[10:11]
	v_add_f64 v[0:1], v[0:1], v[20:21]
	v_fma_f64 v[4:5], v[140:141], s[36:37], -v[4:5]
	v_add_f64 v[6:7], v[6:7], v[106:107]
	v_add_f64 v[106:107], v[12:13], v[136:137]
	v_mul_f64 v[12:13], v[142:143], s[24:25]
	v_add_f64 v[0:1], v[0:1], v[28:29]
	v_add_f64 v[4:5], v[4:5], v[14:15]
	v_fma_f64 v[14:15], s[26:27], v[140:141], v[12:13]
	v_fma_f64 v[12:13], v[140:141], s[26:27], -v[12:13]
	v_add_f64 v[0:1], v[0:1], v[36:37]
	v_add_f64 v[12:13], v[12:13], v[120:121]
	v_mul_f64 v[120:121], v[142:143], s[56:57]
	v_add_f64 v[0:1], v[0:1], v[40:41]
	v_add_f64 v[108:109], v[14:15], v[122:123]
	v_fma_f64 v[14:15], s[22:23], v[140:141], v[120:121]
	v_add_f64 v[0:1], v[0:1], v[46:47]
	v_add_f64 v[14:15], v[14:15], v[104:105]
	v_fma_f64 v[104:105], v[140:141], s[22:23], -v[120:121]
	v_mov_b32_e32 v120, 0x908
	v_add_f64 v[0:1], v[0:1], v[92:93]
	v_cndmask_b32_e64 v120, 0, v120, s[2:3]
	v_add_f64 v[0:1], v[0:1], v[96:97]
	v_fma_f64 v[8:9], v[140:141], s[30:31], -v[8:9]
	v_fma_f64 v[10:11], v[140:141], s[18:19], -v[10:11]
	v_add_u32_e32 v120, 0, v120
	v_add_f64 v[0:1], v[0:1], v[100:101]
	v_add_f64 v[8:9], v[8:9], v[132:133]
	;; [unrolled: 1-line block ×3, first 2 shown]
	v_add3_u32 v129, v120, v119, v118
	v_add_f64 v[104:105], v[104:105], v[130:131]
	ds_write2_b64 v129, v[0:1], v[144:145] offset1:17
	ds_write2_b64 v129, v[114:115], v[116:117] offset0:34 offset1:51
	ds_write2_b64 v129, v[110:111], v[112:113] offset0:68 offset1:85
	;; [unrolled: 1-line block ×7, first 2 shown]
	ds_write_b64 v129, v[86:87] offset:2176
	s_waitcnt lgkmcnt(0)
	s_barrier
	ds_read2_b64 v[0:3], v127 offset0:33 offset1:67
	ds_read2_b64 v[4:7], v127 offset0:101 offset1:135
	ds_read_b64 v[106:107], v49
	ds_read_b64 v[108:109], v73
	;; [unrolled: 1-line block ×4, first 2 shown]
	ds_read2_b64 v[8:11], v127 offset0:169 offset1:203
	ds_read2_b64 v[12:15], v128 offset0:109 offset1:143
	ds_read_b64 v[114:115], v79
	ds_read_b64 v[116:117], v81
	;; [unrolled: 1-line block ×4, first 2 shown]
                                        ; implicit-def: $vgpr104_vgpr105
	s_and_saveexec_b64 s[2:3], s[0:1]
	s_cbranch_execz .LBB0_14
; %bb.13:
	ds_read_b64 v[86:87], v83
	ds_read_b64 v[104:105], v125 offset:4488
.LBB0_14:
	s_or_b64 exec, exec, s[2:3]
	v_add_f64 v[122:123], v[60:61], v[90:91]
	v_add_f64 v[122:123], v[122:123], v[66:67]
	;; [unrolled: 1-line block ×16, first 2 shown]
	v_add_f64 v[88:89], v[88:89], -v[100:101]
	v_mul_f64 v[100:101], v[90:91], s[10:11]
	v_mul_f64 v[130:131], v[90:91], s[14:15]
	;; [unrolled: 1-line block ×8, first 2 shown]
	v_add_f64 v[66:67], v[66:67], v[98:99]
	v_add_f64 v[122:123], v[122:123], v[102:103]
	v_fma_f64 v[102:103], s[48:49], v[88:89], v[100:101]
	v_fmac_f64_e32 v[100:101], s[6:7], v[88:89]
	v_fma_f64 v[132:133], s[52:53], v[88:89], v[130:131]
	v_fmac_f64_e32 v[130:131], s[12:13], v[88:89]
	;; [unrolled: 2-line block ×8, first 2 shown]
	v_add_f64 v[62:63], v[62:63], -v[96:97]
	v_mul_f64 v[88:89], v[66:67], s[14:15]
	v_add_f64 v[102:103], v[60:61], v[102:103]
	v_add_f64 v[100:101], v[60:61], v[100:101]
	;; [unrolled: 1-line block ×16, first 2 shown]
	v_fma_f64 v[90:91], s[52:53], v[62:63], v[88:89]
	v_fmac_f64_e32 v[88:89], s[12:13], v[62:63]
	v_mul_f64 v[96:97], v[66:67], s[22:23]
	v_add_f64 v[88:89], v[88:89], v[100:101]
	v_fma_f64 v[98:99], s[56:57], v[62:63], v[96:97]
	v_fmac_f64_e32 v[96:97], s[20:21], v[62:63]
	v_mul_f64 v[100:101], v[66:67], s[30:31]
	v_add_f64 v[90:91], v[90:91], v[102:103]
	v_add_f64 v[96:97], v[96:97], v[130:131]
	v_fma_f64 v[102:103], s[54:55], v[62:63], v[100:101]
	v_fmac_f64_e32 v[100:101], s[28:29], v[62:63]
	v_mul_f64 v[130:131], v[66:67], s[40:41]
	v_add_f64 v[98:99], v[98:99], v[132:133]
	;; [unrolled: 5-line block ×4, first 2 shown]
	v_add_f64 v[134:135], v[134:135], v[142:143]
	v_fma_f64 v[140:141], s[24:25], v[62:63], v[138:139]
	v_fmac_f64_e32 v[138:139], s[42:43], v[62:63]
	v_mul_f64 v[142:143], v[66:67], s[18:19]
	v_mul_f64 v[66:67], v[66:67], s[10:11]
	v_add_f64 v[58:59], v[58:59], v[94:95]
	v_add_f64 v[136:137], v[136:137], v[144:145]
	;; [unrolled: 1-line block ×3, first 2 shown]
	v_fma_f64 v[144:145], s[16:17], v[62:63], v[142:143]
	v_fmac_f64_e32 v[142:143], s[46:47], v[62:63]
	v_fma_f64 v[146:147], s[6:7], v[62:63], v[66:67]
	v_fmac_f64_e32 v[66:67], s[48:49], v[62:63]
	v_add_f64 v[56:57], v[56:57], -v[92:93]
	v_mul_f64 v[62:63], v[58:59], s[18:19]
	v_add_f64 v[60:61], v[66:67], v[60:61]
	v_fma_f64 v[66:67], s[46:47], v[56:57], v[62:63]
	v_fmac_f64_e32 v[62:63], s[16:17], v[56:57]
	v_add_f64 v[62:63], v[62:63], v[88:89]
	v_mul_f64 v[88:89], v[58:59], s[30:31]
	v_add_f64 v[66:67], v[66:67], v[90:91]
	v_fma_f64 v[90:91], s[54:55], v[56:57], v[88:89]
	v_fmac_f64_e32 v[88:89], s[28:29], v[56:57]
	v_mul_f64 v[92:93], v[58:59], s[40:41]
	v_add_f64 v[88:89], v[88:89], v[96:97]
	v_fma_f64 v[94:95], s[38:39], v[56:57], v[92:93]
	v_fmac_f64_e32 v[92:93], s[50:51], v[56:57]
	v_mul_f64 v[96:97], v[58:59], s[26:27]
	v_add_f64 v[90:91], v[90:91], v[98:99]
	v_add_f64 v[92:93], v[92:93], v[100:101]
	v_fma_f64 v[98:99], s[24:25], v[56:57], v[96:97]
	v_fmac_f64_e32 v[96:97], s[42:43], v[56:57]
	v_mul_f64 v[100:101], v[58:59], s[14:15]
	v_add_f64 v[94:95], v[94:95], v[102:103]
	;; [unrolled: 5-line block ×3, first 2 shown]
	v_add_f64 v[100:101], v[100:101], v[134:135]
	v_fma_f64 v[132:133], s[48:49], v[56:57], v[130:131]
	v_fmac_f64_e32 v[130:131], s[6:7], v[56:57]
	v_mul_f64 v[134:135], v[58:59], s[22:23]
	v_mul_f64 v[58:59], v[58:59], s[36:37]
	v_add_f64 v[54:55], v[54:55], v[64:65]
	v_add_f64 v[130:131], v[130:131], v[138:139]
	v_fma_f64 v[138:139], s[44:45], v[56:57], v[58:59]
	v_fmac_f64_e32 v[58:59], s[34:35], v[56:57]
	v_add_f64 v[46:47], v[52:53], -v[46:47]
	v_mul_f64 v[52:53], v[54:55], s[22:23]
	v_add_f64 v[102:103], v[102:103], v[136:137]
	v_fma_f64 v[136:137], s[56:57], v[56:57], v[134:135]
	v_fmac_f64_e32 v[134:135], s[20:21], v[56:57]
	v_add_f64 v[56:57], v[58:59], v[60:61]
	v_fma_f64 v[58:59], s[56:57], v[46:47], v[52:53]
	v_fmac_f64_e32 v[52:53], s[20:21], v[46:47]
	v_mul_f64 v[60:61], v[54:55], s[40:41]
	v_add_f64 v[52:53], v[52:53], v[62:63]
	v_fma_f64 v[62:63], s[50:51], v[46:47], v[60:61]
	v_fmac_f64_e32 v[60:61], s[38:39], v[46:47]
	v_mul_f64 v[64:65], v[54:55], s[26:27]
	v_add_f64 v[58:59], v[58:59], v[66:67]
	v_add_f64 v[60:61], v[60:61], v[88:89]
	v_fma_f64 v[66:67], s[24:25], v[46:47], v[64:65]
	v_fmac_f64_e32 v[64:65], s[42:43], v[46:47]
	v_mul_f64 v[88:89], v[54:55], s[10:11]
	v_add_f64 v[62:63], v[62:63], v[90:91]
	v_add_f64 v[64:65], v[64:65], v[92:93]
	v_fma_f64 v[90:91], s[6:7], v[46:47], v[88:89]
	v_fmac_f64_e32 v[88:89], s[48:49], v[46:47]
	v_mul_f64 v[92:93], v[54:55], s[18:19]
	v_add_f64 v[42:43], v[44:45], v[42:43]
	v_add_f64 v[66:67], v[66:67], v[94:95]
	v_add_f64 v[88:89], v[88:89], v[96:97]
	v_fma_f64 v[94:95], s[46:47], v[46:47], v[92:93]
	v_fmac_f64_e32 v[92:93], s[16:17], v[46:47]
	v_mul_f64 v[96:97], v[54:55], s[36:37]
	v_add_f64 v[40:41], v[50:51], -v[40:41]
	v_mul_f64 v[44:45], v[42:43], s[26:27]
	v_add_f64 v[90:91], v[90:91], v[98:99]
	v_add_f64 v[92:93], v[92:93], v[100:101]
	v_fma_f64 v[98:99], s[44:45], v[46:47], v[96:97]
	v_fmac_f64_e32 v[96:97], s[34:35], v[46:47]
	v_mul_f64 v[100:101], v[54:55], s[30:31]
	v_mul_f64 v[54:55], v[54:55], s[14:15]
	v_fma_f64 v[50:51], s[42:43], v[40:41], v[44:45]
	v_fmac_f64_e32 v[44:45], s[24:25], v[40:41]
	v_add_f64 v[96:97], v[96:97], v[130:131]
	v_fma_f64 v[130:131], s[12:13], v[46:47], v[54:55]
	v_fmac_f64_e32 v[54:55], s[52:53], v[46:47]
	v_add_f64 v[44:45], v[44:45], v[52:53]
	v_mul_f64 v[52:53], v[42:43], s[36:37]
	v_add_f64 v[94:95], v[94:95], v[102:103]
	v_fma_f64 v[102:103], s[28:29], v[46:47], v[100:101]
	v_fmac_f64_e32 v[100:101], s[54:55], v[46:47]
	v_add_f64 v[46:47], v[54:55], v[56:57]
	v_fma_f64 v[54:55], s[34:35], v[40:41], v[52:53]
	v_fmac_f64_e32 v[52:53], s[44:45], v[40:41]
	v_mul_f64 v[56:57], v[42:43], s[14:15]
	v_add_f64 v[50:51], v[50:51], v[58:59]
	v_add_f64 v[52:53], v[52:53], v[60:61]
	v_fma_f64 v[58:59], s[12:13], v[40:41], v[56:57]
	v_fmac_f64_e32 v[56:57], s[52:53], v[40:41]
	v_mul_f64 v[60:61], v[42:43], s[18:19]
	v_add_f64 v[54:55], v[54:55], v[62:63]
	v_add_f64 v[56:57], v[56:57], v[64:65]
	v_fma_f64 v[62:63], s[46:47], v[40:41], v[60:61]
	v_fmac_f64_e32 v[60:61], s[16:17], v[40:41]
	v_mul_f64 v[64:65], v[42:43], s[40:41]
	v_add_f64 v[58:59], v[58:59], v[66:67]
	v_add_f64 v[60:61], v[60:61], v[88:89]
	v_fma_f64 v[66:67], s[50:51], v[40:41], v[64:65]
	v_fmac_f64_e32 v[64:65], s[38:39], v[40:41]
	v_mul_f64 v[88:89], v[42:43], s[22:23]
	v_add_f64 v[62:63], v[62:63], v[90:91]
	v_add_f64 v[64:65], v[64:65], v[92:93]
	v_fma_f64 v[90:91], s[20:21], v[40:41], v[88:89]
	v_fmac_f64_e32 v[88:89], s[56:57], v[40:41]
	v_mul_f64 v[92:93], v[42:43], s[10:11]
	v_mul_f64 v[42:43], v[42:43], s[30:31]
	v_add_f64 v[34:35], v[34:35], v[38:39]
	v_add_f64 v[88:89], v[88:89], v[96:97]
	v_fma_f64 v[96:97], s[54:55], v[40:41], v[42:43]
	v_fmac_f64_e32 v[42:43], s[28:29], v[40:41]
	v_add_f64 v[32:33], v[32:33], -v[36:37]
	v_mul_f64 v[36:37], v[34:35], s[30:31]
	v_add_f64 v[66:67], v[66:67], v[94:95]
	v_fma_f64 v[94:95], s[48:49], v[40:41], v[92:93]
	v_fmac_f64_e32 v[92:93], s[6:7], v[40:41]
	v_add_f64 v[40:41], v[42:43], v[46:47]
	v_fma_f64 v[38:39], s[54:55], v[32:33], v[36:37]
	v_fmac_f64_e32 v[36:37], s[28:29], v[32:33]
	v_mul_f64 v[42:43], v[34:35], s[26:27]
	v_add_f64 v[36:37], v[36:37], v[44:45]
	v_fma_f64 v[44:45], s[24:25], v[32:33], v[42:43]
	v_fmac_f64_e32 v[42:43], s[42:43], v[32:33]
	v_mul_f64 v[46:47], v[34:35], s[10:11]
	v_add_f64 v[38:39], v[38:39], v[50:51]
	v_add_f64 v[42:43], v[42:43], v[52:53]
	v_fma_f64 v[50:51], s[48:49], v[32:33], v[46:47]
	v_fmac_f64_e32 v[46:47], s[6:7], v[32:33]
	v_mul_f64 v[52:53], v[34:35], s[36:37]
	v_add_f64 v[44:45], v[44:45], v[54:55]
	;; [unrolled: 5-line block ×4, first 2 shown]
	v_add_f64 v[56:57], v[56:57], v[64:65]
	v_fma_f64 v[62:63], s[52:53], v[32:33], v[60:61]
	v_fmac_f64_e32 v[60:61], s[12:13], v[32:33]
	v_mul_f64 v[64:65], v[34:35], s[40:41]
	v_mul_f64 v[34:35], v[34:35], s[18:19]
	v_add_f64 v[26:27], v[26:27], v[30:31]
	v_add_f64 v[60:61], v[60:61], v[88:89]
	v_fma_f64 v[88:89], s[16:17], v[32:33], v[34:35]
	v_fmac_f64_e32 v[34:35], s[46:47], v[32:33]
	v_add_f64 v[24:25], v[24:25], -v[28:29]
	v_mul_f64 v[28:29], v[26:27], s[36:37]
	v_add_f64 v[58:59], v[58:59], v[66:67]
	v_fma_f64 v[66:67], s[50:51], v[32:33], v[64:65]
	v_fmac_f64_e32 v[64:65], s[38:39], v[32:33]
	v_add_f64 v[32:33], v[34:35], v[40:41]
	v_fma_f64 v[30:31], s[44:45], v[24:25], v[28:29]
	v_fmac_f64_e32 v[28:29], s[34:35], v[24:25]
	v_mul_f64 v[34:35], v[26:27], s[18:19]
	v_add_f64 v[30:31], v[30:31], v[38:39]
	v_add_f64 v[28:29], v[28:29], v[36:37]
	v_fma_f64 v[36:37], s[16:17], v[24:25], v[34:35]
	v_fmac_f64_e32 v[34:35], s[46:47], v[24:25]
	v_mul_f64 v[38:39], v[26:27], s[22:23]
	v_add_f64 v[34:35], v[34:35], v[42:43]
	v_fma_f64 v[40:41], s[56:57], v[24:25], v[38:39]
	v_fmac_f64_e32 v[38:39], s[20:21], v[24:25]
	v_mul_f64 v[42:43], v[26:27], s[30:31]
	v_add_f64 v[36:37], v[36:37], v[44:45]
	v_add_f64 v[38:39], v[38:39], v[46:47]
	v_fma_f64 v[44:45], s[28:29], v[24:25], v[42:43]
	v_fmac_f64_e32 v[42:43], s[54:55], v[24:25]
	v_mul_f64 v[46:47], v[26:27], s[10:11]
	v_add_f64 v[40:41], v[40:41], v[50:51]
	;; [unrolled: 5-line block ×3, first 2 shown]
	v_add_f64 v[44:45], v[44:45], v[54:55]
	v_add_f64 v[46:47], v[46:47], v[56:57]
	v_fma_f64 v[54:55], s[50:51], v[24:25], v[52:53]
	v_fmac_f64_e32 v[52:53], s[38:39], v[24:25]
	v_mul_f64 v[56:57], v[26:27], s[14:15]
	v_mul_f64 v[26:27], v[26:27], s[26:27]
	v_add_f64 v[16:17], v[16:17], -v[20:21]
	v_mul_f64 v[20:21], v[18:19], s[40:41]
	v_add_f64 v[52:53], v[52:53], v[60:61]
	v_fma_f64 v[60:61], s[42:43], v[24:25], v[26:27]
	v_fmac_f64_e32 v[26:27], s[24:25], v[24:25]
	v_fma_f64 v[22:23], s[50:51], v[16:17], v[20:21]
	v_fmac_f64_e32 v[20:21], s[38:39], v[16:17]
	v_add_f64 v[50:51], v[50:51], v[58:59]
	v_fma_f64 v[58:59], s[12:13], v[24:25], v[56:57]
	v_fmac_f64_e32 v[56:57], s[52:53], v[24:25]
	v_add_f64 v[24:25], v[26:27], v[32:33]
	v_add_f64 v[32:33], v[20:21], v[28:29]
	v_mul_f64 v[20:21], v[18:19], s[10:11]
	v_add_f64 v[140:141], v[140:141], v[148:149]
	v_add_f64 v[144:145], v[144:145], v[152:153]
	v_add_f64 v[142:143], v[142:143], v[150:151]
	v_add_f64 v[146:147], v[146:147], v[154:155]
	v_fma_f64 v[26:27], s[6:7], v[16:17], v[20:21]
	v_fmac_f64_e32 v[20:21], s[48:49], v[16:17]
	v_mul_f64 v[28:29], v[18:19], s[36:37]
	v_add_f64 v[132:133], v[132:133], v[140:141]
	v_add_f64 v[136:137], v[136:137], v[144:145]
	v_add_f64 v[134:135], v[134:135], v[142:143]
	v_add_f64 v[138:139], v[138:139], v[146:147]
	v_add_f64 v[22:23], v[22:23], v[30:31]
	v_add_f64 v[20:21], v[20:21], v[34:35]
	v_fma_f64 v[30:31], s[44:45], v[16:17], v[28:29]
	v_fmac_f64_e32 v[28:29], s[34:35], v[16:17]
	v_mul_f64 v[34:35], v[18:19], s[14:15]
	v_add_f64 v[98:99], v[98:99], v[132:133]
	v_add_f64 v[102:103], v[102:103], v[136:137]
	;; [unrolled: 9-line block ×4, first 2 shown]
	v_add_f64 v[64:65], v[64:65], v[92:93]
	v_add_f64 v[88:89], v[88:89], v[96:97]
	;; [unrolled: 1-line block ×4, first 2 shown]
	v_fma_f64 v[44:45], s[16:17], v[16:17], v[42:43]
	v_fmac_f64_e32 v[42:43], s[46:47], v[16:17]
	v_mul_f64 v[46:47], v[18:19], s[26:27]
	v_mul_f64 v[18:19], v[18:19], s[22:23]
	v_add_f64 v[54:55], v[54:55], v[62:63]
	v_add_f64 v[58:59], v[58:59], v[66:67]
	;; [unrolled: 1-line block ×6, first 2 shown]
	v_fma_f64 v[50:51], s[42:43], v[16:17], v[46:47]
	v_fmac_f64_e32 v[46:47], s[24:25], v[16:17]
	v_fma_f64 v[52:53], s[20:21], v[16:17], v[18:19]
	v_fmac_f64_e32 v[18:19], s[56:57], v[16:17]
	v_add_f64 v[44:45], v[44:45], v[54:55]
	v_add_f64 v[50:51], v[50:51], v[58:59]
	;; [unrolled: 1-line block ×5, first 2 shown]
	s_waitcnt lgkmcnt(0)
	s_barrier
	ds_write2_b64 v129, v[122:123], v[22:23] offset1:17
	ds_write2_b64 v129, v[26:27], v[30:31] offset0:34 offset1:51
	ds_write2_b64 v129, v[36:37], v[40:41] offset0:68 offset1:85
	;; [unrolled: 1-line block ×7, first 2 shown]
	ds_write_b64 v129, v[32:33] offset:2176
	s_waitcnt lgkmcnt(0)
	s_barrier
	ds_read2_b64 v[16:19], v127 offset0:33 offset1:67
	ds_read2_b64 v[20:23], v127 offset0:101 offset1:135
	ds_read_b64 v[36:37], v49
	ds_read_b64 v[38:39], v73
	;; [unrolled: 1-line block ×4, first 2 shown]
	ds_read2_b64 v[24:27], v127 offset0:169 offset1:203
	ds_read2_b64 v[28:31], v128 offset0:109 offset1:143
	ds_read_b64 v[44:45], v79
	ds_read_b64 v[46:47], v81
	;; [unrolled: 1-line block ×4, first 2 shown]
                                        ; implicit-def: $vgpr34_vgpr35
	s_and_saveexec_b64 s[2:3], s[0:1]
	s_cbranch_execz .LBB0_16
; %bb.15:
	ds_read_b64 v[32:33], v83
	ds_read_b64 v[34:35], v125 offset:4488
	v_mov_b32_e32 v48, v69
.LBB0_16:
	s_or_b64 exec, exec, s[2:3]
	s_and_saveexec_b64 s[2:3], vcc
	s_cbranch_execz .LBB0_19
; %bb.17:
	v_mov_b32_e32 v73, 0
	v_lshl_add_u64 v[54:55], v[72:73], 4, s[4:5]
	v_add_co_u32_e32 v62, vcc, 0x1000, v54
	v_mov_b32_e32 v83, v73
	s_movk_i32 s2, 0x1000
	v_addc_co_u32_e32 v63, vcc, 0, v55, vcc
	v_lshl_add_u64 v[54:55], v[82:83], 4, s[4:5]
	v_add_co_u32_e32 v64, vcc, s2, v54
	v_mov_b32_e32 v81, v73
	s_nop 0
	v_addc_co_u32_e32 v65, vcc, 0, v55, vcc
	global_load_dwordx4 v[54:57], v[62:63], off offset:256
	global_load_dwordx4 v[58:61], v[64:65], off offset:256
	v_lshl_add_u64 v[62:63], v[80:81], 4, s[4:5]
	v_add_co_u32_e32 v62, vcc, s2, v62
	v_mov_b32_e32 v79, v73
	s_nop 0
	v_addc_co_u32_e32 v63, vcc, 0, v63, vcc
	v_lshl_add_u64 v[66:67], v[78:79], 4, s[4:5]
	v_add_co_u32_e32 v66, vcc, s2, v66
	v_mov_b32_e32 v77, v73
	s_nop 0
	v_addc_co_u32_e32 v67, vcc, 0, v67, vcc
	global_load_dwordx4 v[62:65], v[62:63], off offset:256
	v_mov_b32_e32 v75, v73
	global_load_dwordx4 v[78:81], v[66:67], off offset:256
	v_lshl_add_u64 v[66:67], v[76:77], 4, s[4:5]
	v_add_co_u32_e32 v66, vcc, s2, v66
	v_mov_b32_e32 v85, v73
	s_nop 0
	v_addc_co_u32_e32 v67, vcc, 0, v67, vcc
	global_load_dwordx4 v[88:91], v[66:67], off offset:256
	v_lshl_add_u64 v[66:67], v[74:75], 4, s[4:5]
	v_add_co_u32_e32 v66, vcc, s2, v66
	v_mov_b32_e32 v69, v73
	s_nop 0
	v_addc_co_u32_e32 v67, vcc, 0, v67, vcc
	global_load_dwordx4 v[74:77], v[66:67], off offset:256
	v_lshl_add_u64 v[66:67], v[84:85], 4, s[4:5]
	v_add_co_u32_e32 v66, vcc, s2, v66
	s_mov_b32 s7, 0xe2c4a689
	s_nop 0
	v_addc_co_u32_e32 v67, vcc, 0, v67, vcc
	global_load_dwordx4 v[82:85], v[66:67], off offset:256
	v_lshl_add_u64 v[66:67], v[68:69], 4, s[4:5]
	v_add_co_u32_e32 v66, vcc, s2, v66
	s_movk_i32 s6, 0x121
	s_nop 0
	v_addc_co_u32_e32 v67, vcc, 0, v67, vcc
	global_load_dwordx4 v[92:95], v[66:67], off offset:256
	s_waitcnt vmcnt(7)
	v_mul_f64 v[66:67], v[14:15], v[56:57]
	s_waitcnt lgkmcnt(4)
	v_mul_f64 v[56:57], v[30:31], v[56:57]
	s_waitcnt vmcnt(6)
	v_mul_f64 v[96:97], v[12:13], v[60:61]
	v_fmac_f64_e32 v[56:57], v[14:15], v[54:55]
	v_fma_f64 v[14:15], v[28:29], v[58:59], -v[96:97]
	v_mul_f64 v[60:61], v[28:29], v[60:61]
	s_waitcnt lgkmcnt(1)
	v_add_f64 v[14:15], v[50:51], -v[14:15]
	v_fmac_f64_e32 v[60:61], v[12:13], v[58:59]
	v_fma_f64 v[58:59], v[50:51], 2.0, -v[14:15]
	v_fma_f64 v[30:31], v[30:31], v[54:55], -v[66:67]
	v_add_f64 v[12:13], v[118:119], -v[60:61]
	s_waitcnt vmcnt(5)
	v_mul_f64 v[98:99], v[10:11], v[64:65]
	v_mul_f64 v[64:65], v[26:27], v[64:65]
	s_waitcnt vmcnt(4)
	v_mul_f64 v[100:101], v[8:9], v[80:81]
	v_fmac_f64_e32 v[64:65], v[10:11], v[62:63]
	v_mul_f64 v[80:81], v[24:25], v[80:81]
	v_fma_f64 v[28:29], v[24:25], v[78:79], -v[100:101]
	v_add_f64 v[24:25], v[116:117], -v[64:65]
	v_fmac_f64_e32 v[80:81], v[8:9], v[78:79]
	s_waitcnt lgkmcnt(0)
	v_add_f64 v[10:11], v[52:53], -v[30:31]
	s_waitcnt vmcnt(3)
	v_mul_f64 v[50:51], v[6:7], v[90:91]
	v_fma_f64 v[50:51], v[22:23], v[88:89], -v[50:51]
	v_mul_f64 v[22:23], v[22:23], v[90:91]
	v_fmac_f64_e32 v[22:23], v[6:7], v[88:89]
	v_add_f64 v[64:65], v[112:113], -v[22:23]
	v_add_f64 v[66:67], v[42:43], -v[50:51]
	;; [unrolled: 1-line block ×3, first 2 shown]
	s_waitcnt vmcnt(2)
	v_mul_f64 v[6:7], v[4:5], v[76:77]
	v_fma_f64 v[6:7], v[20:21], v[74:75], -v[6:7]
	v_add_f64 v[6:7], v[40:41], -v[6:7]
	v_fma_f64 v[22:23], v[40:41], 2.0, -v[6:7]
	v_mul_f64 v[20:21], v[20:21], v[76:77]
	v_add_f64 v[28:29], v[114:115], -v[80:81]
	v_fma_f64 v[80:81], v[42:43], 2.0, -v[66:67]
	s_waitcnt vmcnt(1)
	v_mul_f64 v[40:41], v[2:3], v[84:85]
	v_fma_f64 v[40:41], v[18:19], v[82:83], -v[40:41]
	v_mul_f64 v[18:19], v[18:19], v[84:85]
	v_fmac_f64_e32 v[18:19], v[2:3], v[82:83]
	v_add_f64 v[40:41], v[38:39], -v[40:41]
	v_fma_f64 v[76:77], v[38:39], 2.0, -v[40:41]
	v_add_f64 v[38:39], v[108:109], -v[18:19]
	s_waitcnt vmcnt(0)
	v_mul_f64 v[2:3], v[0:1], v[94:95]
	v_fma_f64 v[2:3], v[16:17], v[92:93], -v[2:3]
	v_add_f64 v[2:3], v[36:37], -v[2:3]
	v_fma_f64 v[18:19], v[36:37], 2.0, -v[2:3]
	v_mad_u64_u32 v[36:37], s[2:3], s8, v68, 0
	v_mul_f64 v[16:17], v[16:17], v[94:95]
	v_mov_b32_e32 v42, v37
	v_fmac_f64_e32 v[16:17], v[0:1], v[92:93]
	v_mad_u64_u32 v[42:43], s[2:3], s9, v68, v[42:43]
	v_add_f64 v[0:1], v[106:107], -v[16:17]
	v_mov_b32_e32 v37, v42
	v_fma_f64 v[16:17], v[106:107], 2.0, -v[0:1]
	v_lshl_add_u64 v[36:37], v[36:37], 4, v[70:71]
	global_store_dwordx4 v[36:37], v[16:19], off
	v_fmac_f64_e32 v[20:21], v[4:5], v[74:75]
	v_fma_f64 v[74:75], v[108:109], 2.0, -v[38:39]
	v_add_u32_e32 v19, 0x121, v68
	v_mad_u64_u32 v[16:17], s[2:3], s8, v19, 0
	v_mov_b32_e32 v18, v17
	v_mad_u64_u32 v[18:19], s[2:3], s9, v19, v[18:19]
	v_mov_b32_e32 v17, v18
	v_lshl_add_u64 v[16:17], v[16:17], 4, v[70:71]
	global_store_dwordx4 v[16:17], v[0:3], off
	v_add_f64 v[4:5], v[110:111], -v[20:21]
	v_fma_f64 v[20:21], v[110:111], 2.0, -v[4:5]
	v_mad_u64_u32 v[0:1], s[2:3], s8, v124, 0
	v_mov_b32_e32 v2, v1
	v_mad_u64_u32 v[2:3], s[2:3], s9, v124, v[2:3]
	v_mov_b32_e32 v1, v2
	v_lshl_add_u64 v[0:1], v[0:1], 4, v[70:71]
	v_add_u32_e32 v3, 0x143, v68
	global_store_dwordx4 v[0:1], v[74:77], off
	v_mad_u64_u32 v[0:1], s[2:3], s8, v3, 0
	v_mov_b32_e32 v2, v1
	v_mad_u64_u32 v[2:3], s[2:3], s9, v3, v[2:3]
	v_mov_b32_e32 v1, v2
	v_lshl_add_u64 v[0:1], v[0:1], 4, v[70:71]
	v_add_u32_e32 v3, 0x44, v68
	global_store_dwordx4 v[0:1], v[38:41], off
	v_mad_u64_u32 v[0:1], s[2:3], s8, v3, 0
	v_mov_b32_e32 v2, v1
	v_mad_u64_u32 v[2:3], s[2:3], s9, v3, v[2:3]
	v_mov_b32_e32 v1, v2
	v_lshl_add_u64 v[0:1], v[0:1], 4, v[70:71]
	v_add_u32_e32 v3, 0x165, v68
	global_store_dwordx4 v[0:1], v[20:23], off
	v_mad_u64_u32 v[0:1], s[2:3], s8, v3, 0
	v_mov_b32_e32 v2, v1
	v_mad_u64_u32 v[2:3], s[2:3], s9, v3, v[2:3]
	v_mov_b32_e32 v1, v2
	v_lshl_add_u64 v[0:1], v[0:1], 4, v[70:71]
	v_add_u32_e32 v3, 0x66, v68
	global_store_dwordx4 v[0:1], v[4:7], off
	v_mad_u64_u32 v[0:1], s[2:3], s8, v3, 0
	v_mov_b32_e32 v2, v1
	v_mad_u64_u32 v[2:3], s[2:3], s9, v3, v[2:3]
	v_mov_b32_e32 v1, v2
	v_fma_f64 v[78:79], v[112:113], 2.0, -v[64:65]
	v_lshl_add_u64 v[0:1], v[0:1], 4, v[70:71]
	v_add_u32_e32 v3, 0x187, v68
	global_store_dwordx4 v[0:1], v[78:81], off
	v_mad_u64_u32 v[0:1], s[2:3], s8, v3, 0
	v_mov_b32_e32 v2, v1
	v_mad_u64_u32 v[2:3], s[2:3], s9, v3, v[2:3]
	v_mov_b32_e32 v1, v2
	v_lshl_add_u64 v[0:1], v[0:1], 4, v[70:71]
	v_add_u32_e32 v3, 0x88, v68
	global_store_dwordx4 v[0:1], v[64:67], off
	v_mad_u64_u32 v[0:1], s[2:3], s8, v3, 0
	v_mov_b32_e32 v2, v1
	v_fma_f64 v[26:27], v[26:27], v[62:63], -v[98:99]
	v_mad_u64_u32 v[2:3], s[2:3], s9, v3, v[2:3]
	v_add_f64 v[26:27], v[46:47], -v[26:27]
	v_mov_b32_e32 v1, v2
	v_fma_f64 v[62:63], v[46:47], 2.0, -v[26:27]
	v_fma_f64 v[46:47], v[44:45], 2.0, -v[30:31]
	;; [unrolled: 1-line block ×3, first 2 shown]
	v_lshl_add_u64 v[0:1], v[0:1], 4, v[70:71]
	v_add_u32_e32 v3, 0x1a9, v68
	global_store_dwordx4 v[0:1], v[44:47], off
	v_mad_u64_u32 v[0:1], s[2:3], s8, v3, 0
	v_mov_b32_e32 v2, v1
	v_mad_u64_u32 v[2:3], s[2:3], s9, v3, v[2:3]
	v_mov_b32_e32 v1, v2
	v_lshl_add_u64 v[0:1], v[0:1], 4, v[70:71]
	v_add_u32_e32 v3, 0xaa, v68
	global_store_dwordx4 v[0:1], v[28:31], off
	v_mad_u64_u32 v[0:1], s[2:3], s8, v3, 0
	v_mov_b32_e32 v2, v1
	v_mad_u64_u32 v[2:3], s[2:3], s9, v3, v[2:3]
	v_mov_b32_e32 v1, v2
	v_fma_f64 v[60:61], v[116:117], 2.0, -v[24:25]
	v_lshl_add_u64 v[0:1], v[0:1], 4, v[70:71]
	v_add_u32_e32 v3, 0x1cb, v68
	global_store_dwordx4 v[0:1], v[60:63], off
	v_mad_u64_u32 v[0:1], s[2:3], s8, v3, 0
	v_mov_b32_e32 v2, v1
	v_mad_u64_u32 v[2:3], s[2:3], s9, v3, v[2:3]
	v_mov_b32_e32 v1, v2
	v_lshl_add_u64 v[0:1], v[0:1], 4, v[70:71]
	global_store_dwordx4 v[0:1], v[24:27], off
	v_add_u32_e32 v0, 0xcc, v68
	v_mul_hi_u32 v1, v0, s7
	v_lshrrev_b32_e32 v1, 8, v1
	v_mad_u32_u24 v4, v1, s6, v0
	v_mad_u64_u32 v[0:1], s[2:3], s8, v4, 0
	v_mov_b32_e32 v2, v1
	v_mad_u64_u32 v[2:3], s[2:3], s9, v4, v[2:3]
	v_mov_b32_e32 v1, v2
	v_add_f64 v[8:9], v[120:121], -v[56:57]
	v_fma_f64 v[56:57], v[118:119], 2.0, -v[12:13]
	v_lshl_add_u64 v[0:1], v[0:1], 4, v[70:71]
	v_add_u32_e32 v3, 0x121, v4
	global_store_dwordx4 v[0:1], v[56:59], off
	v_mad_u64_u32 v[0:1], s[2:3], s8, v3, 0
	v_mov_b32_e32 v2, v1
	v_mad_u64_u32 v[2:3], s[2:3], s9, v3, v[2:3]
	v_mov_b32_e32 v1, v2
	v_lshl_add_u64 v[0:1], v[0:1], 4, v[70:71]
	global_store_dwordx4 v[0:1], v[12:15], off
	v_add_u32_e32 v0, 0xee, v68
	v_mul_hi_u32 v1, v0, s7
	v_lshrrev_b32_e32 v1, 8, v1
	v_mad_u32_u24 v4, v1, s6, v0
	v_mad_u64_u32 v[0:1], s[2:3], s8, v4, 0
	v_mov_b32_e32 v2, v1
	v_mad_u64_u32 v[2:3], s[2:3], s9, v4, v[2:3]
	v_mov_b32_e32 v1, v2
	v_fma_f64 v[54:55], v[52:53], 2.0, -v[10:11]
	v_fma_f64 v[52:53], v[120:121], 2.0, -v[8:9]
	v_lshl_add_u64 v[0:1], v[0:1], 4, v[70:71]
	v_add_u32_e32 v3, 0x121, v4
	global_store_dwordx4 v[0:1], v[52:55], off
	v_mad_u64_u32 v[0:1], s[2:3], s8, v3, 0
	v_mov_b32_e32 v2, v1
	v_mad_u64_u32 v[2:3], s[2:3], s9, v3, v[2:3]
	v_mov_b32_e32 v1, v2
	v_lshl_add_u64 v[0:1], v[0:1], 4, v[70:71]
	global_store_dwordx4 v[0:1], v[8:11], off
	s_and_b64 exec, exec, s[0:1]
	s_cbranch_execz .LBB0_19
; %bb.18:
	v_mov_b32_e32 v49, v73
	v_lshl_add_u64 v[0:1], v[48:49], 4, s[4:5]
	v_add_co_u32_e32 v0, vcc, 0x1000, v0
	v_add_u32_e32 v9, 0x110, v68
	s_nop 0
	v_addc_co_u32_e32 v1, vcc, 0, v1, vcc
	global_load_dwordx4 v[0:3], v[0:1], off offset:256
	v_mad_u64_u32 v[4:5], s[0:1], s8, v9, 0
	v_mov_b32_e32 v8, v5
	v_add_u32_e32 v11, 0x231, v68
	v_mad_u64_u32 v[8:9], s[0:1], s9, v9, v[8:9]
	v_mad_u64_u32 v[6:7], s[0:1], s8, v11, 0
	v_mov_b32_e32 v5, v8
	v_mov_b32_e32 v10, v7
	v_lshl_add_u64 v[8:9], v[4:5], 4, v[70:71]
	v_mad_u64_u32 v[10:11], s[0:1], s9, v11, v[10:11]
	v_mov_b32_e32 v7, v10
	v_lshl_add_u64 v[10:11], v[6:7], 4, v[70:71]
	s_waitcnt vmcnt(0)
	v_mul_f64 v[4:5], v[34:35], v[2:3]
	v_mul_f64 v[2:3], v[104:105], v[2:3]
	v_fmac_f64_e32 v[4:5], v[104:105], v[0:1]
	v_fma_f64 v[2:3], v[34:35], v[0:1], -v[2:3]
	v_add_f64 v[0:1], v[86:87], -v[4:5]
	v_add_f64 v[2:3], v[32:33], -v[2:3]
	v_fma_f64 v[4:5], v[86:87], 2.0, -v[0:1]
	v_fma_f64 v[6:7], v[32:33], 2.0, -v[2:3]
	global_store_dwordx4 v[8:9], v[4:7], off
	global_store_dwordx4 v[10:11], v[0:3], off
.LBB0_19:
	s_endpgm
	.section	.rodata,"a",@progbits
	.p2align	6, 0x0
	.amdhsa_kernel fft_rtc_back_len578_factors_17_17_2_wgs_238_tpt_34_halfLds_dp_ip_CI_sbrr_dirReg
		.amdhsa_group_segment_fixed_size 0
		.amdhsa_private_segment_fixed_size 0
		.amdhsa_kernarg_size 88
		.amdhsa_user_sgpr_count 2
		.amdhsa_user_sgpr_dispatch_ptr 0
		.amdhsa_user_sgpr_queue_ptr 0
		.amdhsa_user_sgpr_kernarg_segment_ptr 1
		.amdhsa_user_sgpr_dispatch_id 0
		.amdhsa_user_sgpr_kernarg_preload_length 0
		.amdhsa_user_sgpr_kernarg_preload_offset 0
		.amdhsa_user_sgpr_private_segment_size 0
		.amdhsa_uses_dynamic_stack 0
		.amdhsa_enable_private_segment 0
		.amdhsa_system_sgpr_workgroup_id_x 1
		.amdhsa_system_sgpr_workgroup_id_y 0
		.amdhsa_system_sgpr_workgroup_id_z 0
		.amdhsa_system_sgpr_workgroup_info 0
		.amdhsa_system_vgpr_workitem_id 0
		.amdhsa_next_free_vgpr 168
		.amdhsa_next_free_sgpr 58
		.amdhsa_accum_offset 168
		.amdhsa_reserve_vcc 1
		.amdhsa_float_round_mode_32 0
		.amdhsa_float_round_mode_16_64 0
		.amdhsa_float_denorm_mode_32 3
		.amdhsa_float_denorm_mode_16_64 3
		.amdhsa_dx10_clamp 1
		.amdhsa_ieee_mode 1
		.amdhsa_fp16_overflow 0
		.amdhsa_tg_split 0
		.amdhsa_exception_fp_ieee_invalid_op 0
		.amdhsa_exception_fp_denorm_src 0
		.amdhsa_exception_fp_ieee_div_zero 0
		.amdhsa_exception_fp_ieee_overflow 0
		.amdhsa_exception_fp_ieee_underflow 0
		.amdhsa_exception_fp_ieee_inexact 0
		.amdhsa_exception_int_div_zero 0
	.end_amdhsa_kernel
	.text
.Lfunc_end0:
	.size	fft_rtc_back_len578_factors_17_17_2_wgs_238_tpt_34_halfLds_dp_ip_CI_sbrr_dirReg, .Lfunc_end0-fft_rtc_back_len578_factors_17_17_2_wgs_238_tpt_34_halfLds_dp_ip_CI_sbrr_dirReg
                                        ; -- End function
	.section	.AMDGPU.csdata,"",@progbits
; Kernel info:
; codeLenInByte = 16744
; NumSgprs: 64
; NumVgprs: 168
; NumAgprs: 0
; TotalNumVgprs: 168
; ScratchSize: 0
; MemoryBound: 1
; FloatMode: 240
; IeeeMode: 1
; LDSByteSize: 0 bytes/workgroup (compile time only)
; SGPRBlocks: 7
; VGPRBlocks: 20
; NumSGPRsForWavesPerEU: 64
; NumVGPRsForWavesPerEU: 168
; AccumOffset: 168
; Occupancy: 3
; WaveLimiterHint : 1
; COMPUTE_PGM_RSRC2:SCRATCH_EN: 0
; COMPUTE_PGM_RSRC2:USER_SGPR: 2
; COMPUTE_PGM_RSRC2:TRAP_HANDLER: 0
; COMPUTE_PGM_RSRC2:TGID_X_EN: 1
; COMPUTE_PGM_RSRC2:TGID_Y_EN: 0
; COMPUTE_PGM_RSRC2:TGID_Z_EN: 0
; COMPUTE_PGM_RSRC2:TIDIG_COMP_CNT: 0
; COMPUTE_PGM_RSRC3_GFX90A:ACCUM_OFFSET: 41
; COMPUTE_PGM_RSRC3_GFX90A:TG_SPLIT: 0
	.text
	.p2alignl 6, 3212836864
	.fill 256, 4, 3212836864
	.type	__hip_cuid_512fcb19e66ea1de,@object ; @__hip_cuid_512fcb19e66ea1de
	.section	.bss,"aw",@nobits
	.globl	__hip_cuid_512fcb19e66ea1de
__hip_cuid_512fcb19e66ea1de:
	.byte	0                               ; 0x0
	.size	__hip_cuid_512fcb19e66ea1de, 1

	.ident	"AMD clang version 19.0.0git (https://github.com/RadeonOpenCompute/llvm-project roc-6.4.0 25133 c7fe45cf4b819c5991fe208aaa96edf142730f1d)"
	.section	".note.GNU-stack","",@progbits
	.addrsig
	.addrsig_sym __hip_cuid_512fcb19e66ea1de
	.amdgpu_metadata
---
amdhsa.kernels:
  - .agpr_count:     0
    .args:
      - .actual_access:  read_only
        .address_space:  global
        .offset:         0
        .size:           8
        .value_kind:     global_buffer
      - .offset:         8
        .size:           8
        .value_kind:     by_value
      - .actual_access:  read_only
        .address_space:  global
        .offset:         16
        .size:           8
        .value_kind:     global_buffer
      - .actual_access:  read_only
        .address_space:  global
        .offset:         24
        .size:           8
        .value_kind:     global_buffer
      - .offset:         32
        .size:           8
        .value_kind:     by_value
      - .actual_access:  read_only
        .address_space:  global
        .offset:         40
        .size:           8
        .value_kind:     global_buffer
      - .actual_access:  read_only
        .address_space:  global
        .offset:         48
        .size:           8
        .value_kind:     global_buffer
      - .offset:         56
        .size:           4
        .value_kind:     by_value
      - .actual_access:  read_only
        .address_space:  global
        .offset:         64
        .size:           8
        .value_kind:     global_buffer
      - .actual_access:  read_only
        .address_space:  global
        .offset:         72
        .size:           8
        .value_kind:     global_buffer
      - .address_space:  global
        .offset:         80
        .size:           8
        .value_kind:     global_buffer
    .group_segment_fixed_size: 0
    .kernarg_segment_align: 8
    .kernarg_segment_size: 88
    .language:       OpenCL C
    .language_version:
      - 2
      - 0
    .max_flat_workgroup_size: 238
    .name:           fft_rtc_back_len578_factors_17_17_2_wgs_238_tpt_34_halfLds_dp_ip_CI_sbrr_dirReg
    .private_segment_fixed_size: 0
    .sgpr_count:     64
    .sgpr_spill_count: 0
    .symbol:         fft_rtc_back_len578_factors_17_17_2_wgs_238_tpt_34_halfLds_dp_ip_CI_sbrr_dirReg.kd
    .uniform_work_group_size: 1
    .uses_dynamic_stack: false
    .vgpr_count:     168
    .vgpr_spill_count: 0
    .wavefront_size: 64
amdhsa.target:   amdgcn-amd-amdhsa--gfx950
amdhsa.version:
  - 1
  - 2
...

	.end_amdgpu_metadata
